;; amdgpu-corpus repo=ROCm/rocFFT kind=compiled arch=gfx1030 opt=O3
	.text
	.amdgcn_target "amdgcn-amd-amdhsa--gfx1030"
	.amdhsa_code_object_version 6
	.protected	fft_rtc_back_len2880_factors_10_6_6_2_2_2_wgs_96_tpt_96_halfLds_sp_ip_CI_unitstride_sbrr_C2R_dirReg ; -- Begin function fft_rtc_back_len2880_factors_10_6_6_2_2_2_wgs_96_tpt_96_halfLds_sp_ip_CI_unitstride_sbrr_C2R_dirReg
	.globl	fft_rtc_back_len2880_factors_10_6_6_2_2_2_wgs_96_tpt_96_halfLds_sp_ip_CI_unitstride_sbrr_C2R_dirReg
	.p2align	8
	.type	fft_rtc_back_len2880_factors_10_6_6_2_2_2_wgs_96_tpt_96_halfLds_sp_ip_CI_unitstride_sbrr_C2R_dirReg,@function
fft_rtc_back_len2880_factors_10_6_6_2_2_2_wgs_96_tpt_96_halfLds_sp_ip_CI_unitstride_sbrr_C2R_dirReg: ; @fft_rtc_back_len2880_factors_10_6_6_2_2_2_wgs_96_tpt_96_halfLds_sp_ip_CI_unitstride_sbrr_C2R_dirReg
; %bb.0:
	s_clause 0x2
	s_load_dwordx4 s[8:11], s[4:5], 0x0
	s_load_dwordx2 s[2:3], s[4:5], 0x50
	s_load_dwordx2 s[12:13], s[4:5], 0x18
	v_mul_u32_u24_e32 v1, 0x2ab, v0
	v_mov_b32_e32 v3, 0
	v_add_nc_u32_sdwa v5, s6, v1 dst_sel:DWORD dst_unused:UNUSED_PAD src0_sel:DWORD src1_sel:WORD_1
	v_mov_b32_e32 v1, 0
	v_mov_b32_e32 v6, v3
	v_mov_b32_e32 v2, 0
	s_waitcnt lgkmcnt(0)
	v_cmp_lt_u64_e64 s0, s[10:11], 2
	s_and_b32 vcc_lo, exec_lo, s0
	s_cbranch_vccnz .LBB0_8
; %bb.1:
	s_load_dwordx2 s[0:1], s[4:5], 0x10
	v_mov_b32_e32 v1, 0
	s_add_u32 s6, s12, 8
	v_mov_b32_e32 v2, 0
	s_addc_u32 s7, s13, 0
	s_mov_b64 s[16:17], 1
	s_waitcnt lgkmcnt(0)
	s_add_u32 s14, s0, 8
	s_addc_u32 s15, s1, 0
.LBB0_2:                                ; =>This Inner Loop Header: Depth=1
	s_load_dwordx2 s[18:19], s[14:15], 0x0
                                        ; implicit-def: $vgpr7_vgpr8
	s_mov_b32 s0, exec_lo
	s_waitcnt lgkmcnt(0)
	v_or_b32_e32 v4, s19, v6
	v_cmpx_ne_u64_e32 0, v[3:4]
	s_xor_b32 s1, exec_lo, s0
	s_cbranch_execz .LBB0_4
; %bb.3:                                ;   in Loop: Header=BB0_2 Depth=1
	v_cvt_f32_u32_e32 v4, s18
	v_cvt_f32_u32_e32 v7, s19
	s_sub_u32 s0, 0, s18
	s_subb_u32 s20, 0, s19
	v_fmac_f32_e32 v4, 0x4f800000, v7
	v_rcp_f32_e32 v4, v4
	v_mul_f32_e32 v4, 0x5f7ffffc, v4
	v_mul_f32_e32 v7, 0x2f800000, v4
	v_trunc_f32_e32 v7, v7
	v_fmac_f32_e32 v4, 0xcf800000, v7
	v_cvt_u32_f32_e32 v7, v7
	v_cvt_u32_f32_e32 v4, v4
	v_mul_lo_u32 v8, s0, v7
	v_mul_hi_u32 v9, s0, v4
	v_mul_lo_u32 v10, s20, v4
	v_add_nc_u32_e32 v8, v9, v8
	v_mul_lo_u32 v9, s0, v4
	v_add_nc_u32_e32 v8, v8, v10
	v_mul_hi_u32 v10, v4, v9
	v_mul_lo_u32 v11, v4, v8
	v_mul_hi_u32 v12, v4, v8
	v_mul_hi_u32 v13, v7, v9
	v_mul_lo_u32 v9, v7, v9
	v_mul_hi_u32 v14, v7, v8
	v_mul_lo_u32 v8, v7, v8
	v_add_co_u32 v10, vcc_lo, v10, v11
	v_add_co_ci_u32_e32 v11, vcc_lo, 0, v12, vcc_lo
	v_add_co_u32 v9, vcc_lo, v10, v9
	v_add_co_ci_u32_e32 v9, vcc_lo, v11, v13, vcc_lo
	v_add_co_ci_u32_e32 v10, vcc_lo, 0, v14, vcc_lo
	v_add_co_u32 v8, vcc_lo, v9, v8
	v_add_co_ci_u32_e32 v9, vcc_lo, 0, v10, vcc_lo
	v_add_co_u32 v4, vcc_lo, v4, v8
	v_add_co_ci_u32_e32 v7, vcc_lo, v7, v9, vcc_lo
	v_mul_hi_u32 v8, s0, v4
	v_mul_lo_u32 v10, s20, v4
	v_mul_lo_u32 v9, s0, v7
	v_add_nc_u32_e32 v8, v8, v9
	v_mul_lo_u32 v9, s0, v4
	v_add_nc_u32_e32 v8, v8, v10
	v_mul_hi_u32 v10, v4, v9
	v_mul_lo_u32 v11, v4, v8
	v_mul_hi_u32 v12, v4, v8
	v_mul_hi_u32 v13, v7, v9
	v_mul_lo_u32 v9, v7, v9
	v_mul_hi_u32 v14, v7, v8
	v_mul_lo_u32 v8, v7, v8
	v_add_co_u32 v10, vcc_lo, v10, v11
	v_add_co_ci_u32_e32 v11, vcc_lo, 0, v12, vcc_lo
	v_add_co_u32 v9, vcc_lo, v10, v9
	v_add_co_ci_u32_e32 v9, vcc_lo, v11, v13, vcc_lo
	v_add_co_ci_u32_e32 v10, vcc_lo, 0, v14, vcc_lo
	v_add_co_u32 v8, vcc_lo, v9, v8
	v_add_co_ci_u32_e32 v9, vcc_lo, 0, v10, vcc_lo
	v_add_co_u32 v4, vcc_lo, v4, v8
	v_add_co_ci_u32_e32 v11, vcc_lo, v7, v9, vcc_lo
	v_mul_hi_u32 v13, v5, v4
	v_mad_u64_u32 v[9:10], null, v6, v4, 0
	v_mad_u64_u32 v[7:8], null, v5, v11, 0
	;; [unrolled: 1-line block ×3, first 2 shown]
	v_add_co_u32 v4, vcc_lo, v13, v7
	v_add_co_ci_u32_e32 v7, vcc_lo, 0, v8, vcc_lo
	v_add_co_u32 v4, vcc_lo, v4, v9
	v_add_co_ci_u32_e32 v4, vcc_lo, v7, v10, vcc_lo
	v_add_co_ci_u32_e32 v7, vcc_lo, 0, v12, vcc_lo
	v_add_co_u32 v4, vcc_lo, v4, v11
	v_add_co_ci_u32_e32 v9, vcc_lo, 0, v7, vcc_lo
	v_mul_lo_u32 v10, s19, v4
	v_mad_u64_u32 v[7:8], null, s18, v4, 0
	v_mul_lo_u32 v11, s18, v9
	v_sub_co_u32 v7, vcc_lo, v5, v7
	v_add3_u32 v8, v8, v11, v10
	v_sub_nc_u32_e32 v10, v6, v8
	v_subrev_co_ci_u32_e64 v10, s0, s19, v10, vcc_lo
	v_add_co_u32 v11, s0, v4, 2
	v_add_co_ci_u32_e64 v12, s0, 0, v9, s0
	v_sub_co_u32 v13, s0, v7, s18
	v_sub_co_ci_u32_e32 v8, vcc_lo, v6, v8, vcc_lo
	v_subrev_co_ci_u32_e64 v10, s0, 0, v10, s0
	v_cmp_le_u32_e32 vcc_lo, s18, v13
	v_cmp_eq_u32_e64 s0, s19, v8
	v_cndmask_b32_e64 v13, 0, -1, vcc_lo
	v_cmp_le_u32_e32 vcc_lo, s19, v10
	v_cndmask_b32_e64 v14, 0, -1, vcc_lo
	v_cmp_le_u32_e32 vcc_lo, s18, v7
	;; [unrolled: 2-line block ×3, first 2 shown]
	v_cndmask_b32_e64 v15, 0, -1, vcc_lo
	v_cmp_eq_u32_e32 vcc_lo, s19, v10
	v_cndmask_b32_e64 v7, v15, v7, s0
	v_cndmask_b32_e32 v10, v14, v13, vcc_lo
	v_add_co_u32 v13, vcc_lo, v4, 1
	v_add_co_ci_u32_e32 v14, vcc_lo, 0, v9, vcc_lo
	v_cmp_ne_u32_e32 vcc_lo, 0, v10
	v_cndmask_b32_e32 v8, v14, v12, vcc_lo
	v_cndmask_b32_e32 v10, v13, v11, vcc_lo
	v_cmp_ne_u32_e32 vcc_lo, 0, v7
	v_cndmask_b32_e32 v8, v9, v8, vcc_lo
	v_cndmask_b32_e32 v7, v4, v10, vcc_lo
.LBB0_4:                                ;   in Loop: Header=BB0_2 Depth=1
	s_andn2_saveexec_b32 s0, s1
	s_cbranch_execz .LBB0_6
; %bb.5:                                ;   in Loop: Header=BB0_2 Depth=1
	v_cvt_f32_u32_e32 v4, s18
	s_sub_i32 s1, 0, s18
	v_rcp_iflag_f32_e32 v4, v4
	v_mul_f32_e32 v4, 0x4f7ffffe, v4
	v_cvt_u32_f32_e32 v4, v4
	v_mul_lo_u32 v7, s1, v4
	v_mul_hi_u32 v7, v4, v7
	v_add_nc_u32_e32 v4, v4, v7
	v_mul_hi_u32 v4, v5, v4
	v_mul_lo_u32 v7, v4, s18
	v_add_nc_u32_e32 v8, 1, v4
	v_sub_nc_u32_e32 v7, v5, v7
	v_subrev_nc_u32_e32 v9, s18, v7
	v_cmp_le_u32_e32 vcc_lo, s18, v7
	v_cndmask_b32_e32 v7, v7, v9, vcc_lo
	v_cndmask_b32_e32 v4, v4, v8, vcc_lo
	v_cmp_le_u32_e32 vcc_lo, s18, v7
	v_add_nc_u32_e32 v8, 1, v4
	v_cndmask_b32_e32 v7, v4, v8, vcc_lo
	v_mov_b32_e32 v8, v3
.LBB0_6:                                ;   in Loop: Header=BB0_2 Depth=1
	s_or_b32 exec_lo, exec_lo, s0
	s_load_dwordx2 s[0:1], s[6:7], 0x0
	v_mul_lo_u32 v4, v8, s18
	v_mul_lo_u32 v11, v7, s19
	v_mad_u64_u32 v[9:10], null, v7, s18, 0
	s_add_u32 s16, s16, 1
	s_addc_u32 s17, s17, 0
	s_add_u32 s6, s6, 8
	s_addc_u32 s7, s7, 0
	;; [unrolled: 2-line block ×3, first 2 shown]
	v_add3_u32 v4, v10, v11, v4
	v_sub_co_u32 v5, vcc_lo, v5, v9
	v_sub_co_ci_u32_e32 v4, vcc_lo, v6, v4, vcc_lo
	s_waitcnt lgkmcnt(0)
	v_mul_lo_u32 v6, s1, v5
	v_mul_lo_u32 v4, s0, v4
	v_mad_u64_u32 v[1:2], null, s0, v5, v[1:2]
	v_cmp_ge_u64_e64 s0, s[16:17], s[10:11]
	s_and_b32 vcc_lo, exec_lo, s0
	v_add3_u32 v2, v6, v2, v4
	s_cbranch_vccnz .LBB0_9
; %bb.7:                                ;   in Loop: Header=BB0_2 Depth=1
	v_mov_b32_e32 v5, v7
	v_mov_b32_e32 v6, v8
	s_branch .LBB0_2
.LBB0_8:
	v_mov_b32_e32 v8, v6
	v_mov_b32_e32 v7, v5
.LBB0_9:
	s_lshl_b64 s[0:1], s[10:11], 3
	v_mul_hi_u32 v4, 0x2aaaaab, v0
	s_add_u32 s0, s12, s0
	s_addc_u32 s1, s13, s1
	s_load_dwordx2 s[0:1], s[0:1], 0x0
	s_load_dwordx2 s[4:5], s[4:5], 0x20
	s_waitcnt lgkmcnt(0)
	v_mul_lo_u32 v5, s0, v8
	v_mul_lo_u32 v6, s1, v7
	v_mad_u64_u32 v[2:3], null, s0, v7, v[1:2]
	v_mul_u32_u24_e32 v1, 0x60, v4
	v_cmp_gt_u64_e32 vcc_lo, s[4:5], v[7:8]
	v_sub_nc_u32_e32 v0, v0, v1
	v_add3_u32 v3, v6, v3, v5
	v_mov_b32_e32 v1, 0
	v_mov_b32_e32 v40, v0
	v_lshlrev_b64 v[42:43], 3, v[2:3]
	s_and_saveexec_b32 s1, vcc_lo
	s_cbranch_execz .LBB0_13
; %bb.10:
	v_lshlrev_b64 v[5:6], 3, v[0:1]
	v_add_co_u32 v3, s0, s2, v42
	v_add_co_ci_u32_e64 v4, s0, s3, v43, s0
	v_or_b32_e32 v7, 0x180, v0
	v_add_co_u32 v5, s0, v3, v5
	v_mov_b32_e32 v8, v1
	v_add_co_ci_u32_e64 v6, s0, v4, v6, s0
	v_or_b32_e32 v23, 0x300, v0
	v_mov_b32_e32 v24, v1
	v_add_co_u32 v9, s0, 0x800, v5
	v_lshlrev_b64 v[7:8], 3, v[7:8]
	v_add_co_ci_u32_e64 v10, s0, 0, v6, s0
	v_add_co_u32 v11, s0, 0x1000, v5
	v_lshlrev_b64 v[23:24], 3, v[23:24]
	v_add_co_ci_u32_e64 v12, s0, 0, v6, s0
	v_add_co_u32 v7, s0, v3, v7
	v_or_b32_e32 v25, 0x480, v0
	v_mov_b32_e32 v26, v1
	v_add_co_ci_u32_e64 v8, s0, v4, v8, s0
	v_add_co_u32 v23, s0, v3, v23
	v_add_co_ci_u32_e64 v24, s0, v4, v24, s0
	v_lshlrev_b64 v[25:26], 3, v[25:26]
	v_add_co_u32 v35, s0, 0x1800, v5
	v_or_b32_e32 v27, 0x600, v0
	v_mov_b32_e32 v28, v1
	v_add_co_ci_u32_e64 v36, s0, 0, v6, s0
	v_add_co_u32 v37, s0, 0x2000, v5
	v_add_co_ci_u32_e64 v38, s0, 0, v6, s0
	v_lshlrev_b64 v[27:28], 3, v[27:28]
	v_add_co_u32 v25, s0, v3, v25
	v_add_co_ci_u32_e64 v26, s0, v4, v26, s0
	v_add_co_u32 v39, s0, 0x2800, v5
	v_or_b32_e32 v29, 0x780, v0
	v_mov_b32_e32 v30, v1
	v_add_co_ci_u32_e64 v40, s0, 0, v6, s0
	v_add_co_u32 v27, s0, v3, v27
	v_add_co_ci_u32_e64 v28, s0, v4, v28, s0
	v_lshlrev_b64 v[29:30], 3, v[29:30]
	v_add_co_u32 v44, s0, 0x3000, v5
	v_or_b32_e32 v31, 0x900, v0
	v_mov_b32_e32 v32, v1
	v_add_co_ci_u32_e64 v45, s0, 0, v6, s0
	v_add_co_u32 v46, s0, 0x3800, v5
	v_add_co_ci_u32_e64 v47, s0, 0, v6, s0
	v_lshlrev_b64 v[31:32], 3, v[31:32]
	v_add_co_u32 v29, s0, v3, v29
	v_add_co_ci_u32_e64 v30, s0, v4, v30, s0
	v_add_co_u32 v48, s0, 0x4000, v5
	v_or_b32_e32 v33, 0xa80, v0
	v_mov_b32_e32 v34, v1
	v_add_co_ci_u32_e64 v49, s0, 0, v6, s0
	v_add_co_u32 v31, s0, v3, v31
	v_add_co_ci_u32_e64 v32, s0, v4, v32, s0
	v_lshlrev_b64 v[33:34], 3, v[33:34]
	v_add_co_u32 v50, s0, 0x4800, v5
	v_add_co_ci_u32_e64 v51, s0, 0, v6, s0
	s_clause 0x7
	global_load_dwordx2 v[13:14], v[9:10], off offset:256
	global_load_dwordx2 v[15:16], v[11:12], off offset:1280
	;; [unrolled: 1-line block ×3, first 2 shown]
	global_load_dwordx2 v[7:8], v[7:8], off
	global_load_dwordx2 v[9:10], v[9:10], off offset:1792
	global_load_dwordx2 v[17:18], v[5:6], off
	global_load_dwordx2 v[19:20], v[5:6], off offset:1536
	global_load_dwordx2 v[21:22], v[5:6], off offset:768
	v_add_co_u32 v5, s0, 0x5000, v5
	v_add_co_ci_u32_e64 v6, s0, 0, v6, s0
	v_add_co_u32 v33, s0, v3, v33
	v_add_co_ci_u32_e64 v34, s0, v4, v34, s0
	s_clause 0x15
	global_load_dwordx2 v[23:24], v[23:24], off
	global_load_dwordx2 v[52:53], v[35:36], off offset:768
	global_load_dwordx2 v[35:36], v[35:36], off offset:1536
	;; [unrolled: 1-line block ×5, first 2 shown]
	global_load_dwordx2 v[25:26], v[25:26], off
	global_load_dwordx2 v[37:38], v[37:38], off offset:1792
	global_load_dwordx2 v[27:28], v[27:28], off
	global_load_dwordx2 v[58:59], v[44:45], off offset:768
	global_load_dwordx2 v[44:45], v[44:45], off offset:1536
	;; [unrolled: 1-line block ×5, first 2 shown]
	global_load_dwordx2 v[29:30], v[29:30], off
	global_load_dwordx2 v[46:47], v[46:47], off offset:1792
	global_load_dwordx2 v[31:32], v[31:32], off
	global_load_dwordx2 v[64:65], v[50:51], off offset:768
	global_load_dwordx2 v[50:51], v[50:51], off offset:1536
	;; [unrolled: 1-line block ×3, first 2 shown]
	global_load_dwordx2 v[33:34], v[33:34], off
	global_load_dwordx2 v[5:6], v[5:6], off offset:1792
	v_lshl_add_u32 v41, v0, 3, 0
	v_mov_b32_e32 v2, v1
	v_cmp_eq_u32_e64 s0, 0x5f, v0
	v_mov_b32_e32 v1, v0
	v_add_nc_u32_e32 v68, 0x400, v41
	v_add_nc_u32_e32 v69, 0x800, v41
	;; [unrolled: 1-line block ×14, first 2 shown]
	s_waitcnt vmcnt(23)
	ds_write2_b64 v68, v[19:20], v[13:14] offset0:64 offset1:160
	ds_write2_b64 v69, v[7:8], v[9:10] offset0:128 offset1:224
	;; [unrolled: 1-line block ×3, first 2 shown]
	s_waitcnt vmcnt(20)
	ds_write2_b64 v71, v[23:24], v[52:53] offset1:96
	ds_write2_b64 v41, v[17:18], v[21:22] offset1:96
	s_waitcnt vmcnt(18)
	ds_write2_b64 v72, v[35:36], v[54:55] offset0:64 offset1:160
	s_waitcnt vmcnt(14)
	ds_write2_b64 v73, v[25:26], v[37:38] offset0:128 offset1:224
	ds_write2_b64 v74, v[39:40], v[56:57] offset0:64 offset1:160
	s_waitcnt vmcnt(12)
	ds_write2_b64 v75, v[27:28], v[58:59] offset1:96
	s_waitcnt vmcnt(10)
	ds_write2_b64 v76, v[44:45], v[60:61] offset0:64 offset1:160
	s_waitcnt vmcnt(6)
	ds_write2_b64 v77, v[29:30], v[46:47] offset0:128 offset1:224
	ds_write2_b64 v78, v[48:49], v[62:63] offset0:64 offset1:160
	s_waitcnt vmcnt(4)
	ds_write2_b64 v79, v[31:32], v[64:65] offset1:96
	s_waitcnt vmcnt(2)
	ds_write2_b64 v80, v[50:51], v[66:67] offset0:64 offset1:160
	s_waitcnt vmcnt(0)
	ds_write2_b64 v81, v[33:34], v[5:6] offset0:128 offset1:224
	s_and_saveexec_b32 s4, s0
	s_cbranch_execz .LBB0_12
; %bb.11:
	v_add_co_u32 v0, s0, 0x5800, v3
	v_add_co_ci_u32_e64 v1, s0, 0, v4, s0
	v_mov_b32_e32 v5, 0
	global_load_dwordx2 v[3:4], v[0:1], off offset:512
	v_mov_b32_e32 v1, 0x5f
	v_mov_b32_e32 v2, 0
	;; [unrolled: 1-line block ×3, first 2 shown]
	s_waitcnt vmcnt(0)
	ds_write_b64 v5, v[3:4] offset:23040
.LBB0_12:
	s_or_b32 exec_lo, exec_lo, s4
	v_mov_b32_e32 v40, v0
	v_mov_b32_e32 v0, v1
	;; [unrolled: 1-line block ×3, first 2 shown]
.LBB0_13:
	s_or_b32 exec_lo, exec_lo, s1
	v_lshlrev_b32_e32 v2, 3, v40
	s_waitcnt lgkmcnt(0)
	s_barrier
	buffer_gl0_inv
	v_lshlrev_b64 v[50:51], 3, v[0:1]
	v_add_nc_u32_e32 v69, 0, v2
	v_sub_nc_u32_e32 v2, 0, v2
	s_add_u32 s1, s8, 0x59b0
	s_addc_u32 s4, s9, 0
	s_mov_b32 s5, exec_lo
	ds_read_b32 v3, v69
	ds_read_b32 v4, v2 offset:23040
	s_waitcnt lgkmcnt(0)
	v_add_f32_e32 v0, v4, v3
	v_sub_f32_e32 v1, v3, v4
	v_cmpx_ne_u32_e32 0, v40
	s_xor_b32 s5, exec_lo, s5
	s_cbranch_execz .LBB0_15
; %bb.14:
	v_add_co_u32 v0, s0, s1, v50
	v_add_co_ci_u32_e64 v1, s0, s4, v51, s0
	v_add_f32_e32 v7, v4, v3
	v_sub_f32_e32 v8, v3, v4
	global_load_dwordx2 v[5:6], v[0:1], off
	ds_read_b32 v0, v2 offset:23044
	ds_read_b32 v1, v69 offset:4
	s_waitcnt lgkmcnt(0)
	v_add_f32_e32 v9, v0, v1
	v_sub_f32_e32 v0, v1, v0
	s_waitcnt vmcnt(0)
	v_fma_f32 v3, -v8, v6, v7
	v_fma_f32 v4, v9, v6, -v0
	v_fma_f32 v10, v8, v6, v7
	v_fma_f32 v1, v9, v6, v0
	v_fmac_f32_e32 v3, v5, v9
	v_fmac_f32_e32 v4, v8, v5
	v_fma_f32 v0, -v5, v9, v10
	v_fmac_f32_e32 v1, v8, v5
	ds_write_b64 v2, v[3:4] offset:23040
.LBB0_15:
	s_andn2_saveexec_b32 s0, s5
	s_cbranch_execz .LBB0_17
; %bb.16:
	v_mov_b32_e32 v5, 0
	ds_read_b64 v[3:4], v5 offset:11520
	s_waitcnt lgkmcnt(0)
	v_add_f32_e32 v3, v3, v3
	v_mul_f32_e32 v4, -2.0, v4
	ds_write_b64 v5, v[3:4] offset:11520
.LBB0_17:
	s_or_b32 exec_lo, exec_lo, s0
	v_mov_b32_e32 v41, 0
	v_or_b32_e32 v58, 0x180, v40
	v_or_b32_e32 v52, 0x300, v40
	;; [unrolled: 1-line block ×3, first 2 shown]
	v_add_nc_u32_e32 v74, 0x1000, v69
	v_lshlrev_b64 v[54:55], 3, v[40:41]
	v_mov_b32_e32 v59, v41
	v_mov_b32_e32 v53, v41
	;; [unrolled: 1-line block ×3, first 2 shown]
	v_add_nc_u32_e32 v77, 0x800, v69
	v_add_nc_u32_e32 v70, 0x3000, v69
	v_add_co_u32 v3, s0, s1, v54
	v_add_co_ci_u32_e64 v4, s0, s4, v55, s0
	v_lshlrev_b64 v[48:49], 3, v[58:59]
	v_add_co_u32 v9, s0, 0x800, v3
	s_clause 0x1
	global_load_dwordx2 v[5:6], v[3:4], off offset:768
	global_load_dwordx2 v[7:8], v[3:4], off offset:1536
	v_add_co_ci_u32_e64 v10, s0, 0, v4, s0
	v_add_co_u32 v13, s0, s1, v48
	v_add_co_ci_u32_e64 v14, s0, s4, v49, s0
	s_clause 0x2
	global_load_dwordx2 v[11:12], v[9:10], off offset:256
	global_load_dwordx2 v[13:14], v[13:14], off
	global_load_dwordx2 v[9:10], v[9:10], off offset:1792
	v_add_co_u32 v15, s0, 0x1000, v3
	v_add_co_ci_u32_e64 v16, s0, 0, v4, s0
	s_clause 0x1
	global_load_dwordx2 v[17:18], v[15:16], off offset:512
	global_load_dwordx2 v[15:16], v[15:16], off offset:1280
	v_lshlrev_b64 v[44:45], 3, v[52:53]
	ds_write_b64 v69, v[0:1]
	ds_read_b64 v[0:1], v69 offset:768
	ds_read_b64 v[19:20], v2 offset:22272
	v_lshlrev_b64 v[46:47], 3, v[56:57]
	v_add_nc_u32_e32 v53, 0x1c00, v69
	v_add_nc_u32_e32 v73, 0x2000, v69
	v_add_co_u32 v21, s0, s1, v44
	v_add_co_ci_u32_e64 v22, s0, s4, v45, s0
	v_add_nc_u32_e32 v71, 0x4000, v69
	v_add_nc_u32_e32 v76, 0x3400, v69
	;; [unrolled: 1-line block ×3, first 2 shown]
	global_load_dwordx2 v[21:22], v[21:22], off
	v_add_nc_u32_e32 v75, 0x4800, v69
	v_add_nc_u32_e32 v80, 0x400, v69
	;; [unrolled: 1-line block ×5, first 2 shown]
	s_waitcnt lgkmcnt(0)
	v_add_f32_e32 v23, v0, v19
	v_add_f32_e32 v24, v20, v1
	v_sub_f32_e32 v25, v0, v19
	v_sub_f32_e32 v0, v1, v20
	s_waitcnt vmcnt(7)
	v_fma_f32 v26, v25, v6, v23
	v_fma_f32 v1, v24, v6, v0
	v_fma_f32 v19, -v25, v6, v23
	v_fma_f32 v20, v24, v6, -v0
	v_fma_f32 v0, -v5, v24, v26
	v_fmac_f32_e32 v1, v25, v5
	v_fmac_f32_e32 v19, v5, v24
	;; [unrolled: 1-line block ×3, first 2 shown]
	v_add_co_u32 v5, s0, 0x1800, v3
	v_add_co_ci_u32_e64 v6, s0, 0, v4, s0
	ds_write_b64 v69, v[0:1] offset:768
	ds_write_b64 v2, v[19:20] offset:22272
	ds_read_b64 v[0:1], v69 offset:1536
	ds_read_b64 v[19:20], v2 offset:21504
	global_load_dwordx2 v[23:24], v[5:6], off offset:768
	s_waitcnt lgkmcnt(0)
	v_add_f32_e32 v25, v0, v19
	v_add_f32_e32 v26, v20, v1
	v_sub_f32_e32 v27, v0, v19
	v_sub_f32_e32 v0, v1, v20
	s_waitcnt vmcnt(7)
	v_fma_f32 v28, v27, v8, v25
	v_fma_f32 v1, v26, v8, v0
	v_fma_f32 v19, -v27, v8, v25
	v_fma_f32 v20, v26, v8, -v0
	v_fma_f32 v0, -v7, v26, v28
	v_fmac_f32_e32 v1, v27, v7
	v_fmac_f32_e32 v19, v7, v26
	;; [unrolled: 1-line block ×3, first 2 shown]
	ds_write_b64 v69, v[0:1] offset:1536
	ds_write_b64 v2, v[19:20] offset:21504
	ds_read_b64 v[0:1], v69 offset:2304
	ds_read_b64 v[7:8], v2 offset:20736
	global_load_dwordx2 v[5:6], v[5:6], off offset:1536
	s_waitcnt lgkmcnt(0)
	v_add_f32_e32 v19, v0, v7
	v_add_f32_e32 v20, v8, v1
	v_sub_f32_e32 v25, v0, v7
	v_sub_f32_e32 v0, v1, v8
	s_waitcnt vmcnt(7)
	v_fma_f32 v26, v25, v12, v19
	v_fma_f32 v1, v20, v12, v0
	v_fma_f32 v7, -v25, v12, v19
	v_fma_f32 v8, v20, v12, -v0
	v_fma_f32 v0, -v11, v20, v26
	v_fmac_f32_e32 v1, v25, v11
	v_fmac_f32_e32 v7, v11, v20
	;; [unrolled: 1-line block ×3, first 2 shown]
	v_add_co_u32 v11, s0, 0x2000, v3
	v_add_co_ci_u32_e64 v12, s0, 0, v4, s0
	ds_write_b64 v69, v[0:1] offset:2304
	ds_write_b64 v2, v[7:8] offset:20736
	ds_read_b64 v[0:1], v69 offset:3072
	ds_read_b64 v[7:8], v2 offset:19968
	global_load_dwordx2 v[19:20], v[11:12], off offset:256
	s_waitcnt lgkmcnt(0)
	v_add_f32_e32 v25, v0, v7
	v_add_f32_e32 v26, v8, v1
	v_sub_f32_e32 v27, v0, v7
	v_sub_f32_e32 v0, v1, v8
	s_waitcnt vmcnt(7)
	v_fma_f32 v28, v27, v14, v25
	v_fma_f32 v1, v26, v14, v0
	v_fma_f32 v7, -v27, v14, v25
	v_fma_f32 v8, v26, v14, -v0
	v_fma_f32 v0, -v13, v26, v28
	v_fmac_f32_e32 v1, v27, v13
	v_fmac_f32_e32 v7, v13, v26
	;; [unrolled: 1-line block ×3, first 2 shown]
	v_add_co_u32 v13, s0, s1, v46
	v_add_co_ci_u32_e64 v14, s0, s4, v47, s0
	ds_write_b64 v69, v[0:1] offset:3072
	ds_write_b64 v2, v[7:8] offset:19968
	ds_read_b64 v[0:1], v69 offset:3840
	ds_read_b64 v[7:8], v2 offset:19200
	v_add_co_u32 v3, s0, 0x2800, v3
	global_load_dwordx2 v[13:14], v[13:14], off
	v_add_co_ci_u32_e64 v4, s0, 0, v4, s0
	v_cmp_gt_u32_e64 s0, 60, v40
	s_waitcnt lgkmcnt(0)
	v_add_f32_e32 v25, v0, v7
	v_add_f32_e32 v26, v8, v1
	v_sub_f32_e32 v27, v0, v7
	v_sub_f32_e32 v0, v1, v8
	s_waitcnt vmcnt(7)
	v_fma_f32 v28, v27, v10, v25
	v_fma_f32 v1, v26, v10, v0
	v_fma_f32 v7, -v27, v10, v25
	v_fma_f32 v8, v26, v10, -v0
	v_fma_f32 v0, -v9, v26, v28
	v_fmac_f32_e32 v1, v27, v9
	v_fmac_f32_e32 v7, v9, v26
	;; [unrolled: 1-line block ×3, first 2 shown]
	ds_write_b64 v69, v[0:1] offset:3840
	ds_write_b64 v2, v[7:8] offset:19200
	ds_read_b64 v[0:1], v69 offset:4608
	ds_read_b64 v[7:8], v2 offset:18432
	global_load_dwordx2 v[9:10], v[11:12], off offset:1792
	s_waitcnt lgkmcnt(0)
	v_add_f32_e32 v11, v0, v7
	v_add_f32_e32 v12, v8, v1
	v_sub_f32_e32 v25, v0, v7
	v_sub_f32_e32 v0, v1, v8
	s_waitcnt vmcnt(7)
	v_fma_f32 v26, v25, v18, v11
	v_fma_f32 v1, v12, v18, v0
	v_fma_f32 v7, -v25, v18, v11
	v_fma_f32 v8, v12, v18, -v0
	v_fma_f32 v0, -v17, v12, v26
	v_fmac_f32_e32 v1, v25, v17
	v_fmac_f32_e32 v7, v17, v12
	;; [unrolled: 1-line block ×3, first 2 shown]
	ds_write_b64 v69, v[0:1] offset:4608
	ds_write_b64 v2, v[7:8] offset:18432
	ds_read_b64 v[0:1], v69 offset:5376
	ds_read_b64 v[7:8], v2 offset:17664
	global_load_dwordx2 v[3:4], v[3:4], off offset:512
	s_waitcnt lgkmcnt(0)
	v_add_f32_e32 v11, v0, v7
	v_add_f32_e32 v12, v8, v1
	v_sub_f32_e32 v17, v0, v7
	v_sub_f32_e32 v0, v1, v8
	s_waitcnt vmcnt(7)
	v_fma_f32 v18, v17, v16, v11
	v_fma_f32 v1, v12, v16, v0
	v_fma_f32 v7, -v17, v16, v11
	v_fma_f32 v8, v12, v16, -v0
	v_fma_f32 v0, -v15, v12, v18
	v_fmac_f32_e32 v1, v17, v15
	v_fmac_f32_e32 v7, v15, v12
	v_fmac_f32_e32 v8, v17, v15
	ds_write_b64 v69, v[0:1] offset:5376
	ds_write_b64 v2, v[7:8] offset:17664
	ds_read_b64 v[0:1], v69 offset:6144
	ds_read_b64 v[7:8], v2 offset:16896
	s_waitcnt lgkmcnt(0)
	v_add_f32_e32 v11, v0, v7
	v_add_f32_e32 v12, v8, v1
	v_sub_f32_e32 v15, v0, v7
	v_sub_f32_e32 v0, v1, v8
	s_waitcnt vmcnt(6)
	v_fma_f32 v16, v15, v22, v11
	v_fma_f32 v1, v12, v22, v0
	v_fma_f32 v7, -v15, v22, v11
	v_fma_f32 v8, v12, v22, -v0
	v_fma_f32 v0, -v21, v12, v16
	v_fmac_f32_e32 v1, v15, v21
	v_fmac_f32_e32 v7, v21, v12
	v_fmac_f32_e32 v8, v15, v21
	ds_write_b64 v69, v[0:1] offset:6144
	ds_write_b64 v2, v[7:8] offset:16896
	ds_read_b64 v[0:1], v69 offset:6912
	ds_read_b64 v[7:8], v2 offset:16128
	;; [unrolled: 18-line block ×7, first 2 shown]
	s_waitcnt lgkmcnt(0)
	v_add_f32_e32 v7, v0, v5
	v_add_f32_e32 v8, v6, v1
	v_sub_f32_e32 v9, v0, v5
	v_sub_f32_e32 v0, v1, v6
	s_waitcnt vmcnt(0)
	v_fma_f32 v10, v9, v4, v7
	v_fma_f32 v1, v8, v4, v0
	v_fma_f32 v5, -v9, v4, v7
	v_fma_f32 v6, v8, v4, -v0
	v_fma_f32 v0, -v3, v8, v10
	v_fmac_f32_e32 v1, v9, v3
	v_fmac_f32_e32 v5, v3, v8
	;; [unrolled: 1-line block ×3, first 2 shown]
	ds_write_b64 v69, v[0:1] offset:10752
	ds_write_b64 v2, v[5:6] offset:12288
	s_waitcnt lgkmcnt(0)
	s_barrier
	buffer_gl0_inv
	s_barrier
	buffer_gl0_inv
	ds_read2_b64 v[12:15], v53 offset0:64 offset1:160
	ds_read2_b64 v[4:7], v70 offset1:96
	ds_read2_b64 v[0:3], v71 offset0:64 offset1:160
	ds_read2_b64 v[8:11], v72 offset0:128 offset1:224
	;; [unrolled: 1-line block ×5, first 2 shown]
	ds_read2_b64 v[87:90], v75 offset1:96
	ds_read2_b64 v[98:101], v77 offset0:128 offset1:224
	ds_read2_b64 v[94:97], v69 offset1:96
	s_waitcnt lgkmcnt(8)
	v_sub_f32_e32 v20, v12, v4
	v_sub_f32_e32 v22, v13, v5
	s_waitcnt lgkmcnt(6)
	v_sub_f32_e32 v30, v12, v8
	v_sub_f32_e32 v28, v13, v9
	s_waitcnt lgkmcnt(1)
	v_add_f32_e32 v68, v98, v12
	v_add_f32_e32 v81, v99, v13
	v_sub_f32_e32 v111, v4, v12
	v_sub_f32_e32 v113, v5, v13
	v_add_f32_e32 v116, v12, v8
	v_add_f32_e32 v117, v13, v9
	;; [unrolled: 1-line block ×5, first 2 shown]
	v_sub_f32_e32 v29, v5, v1
	v_sub_f32_e32 v24, v18, v61
	s_waitcnt lgkmcnt(0)
	v_add_f32_e32 v39, v96, v18
	v_add_f32_e32 v67, v97, v19
	v_sub_f32_e32 v86, v18, v89
	v_sub_f32_e32 v106, v61, v18
	v_add_f32_e32 v115, v18, v89
	v_add_f32_e32 v118, v6, v2
	v_sub_f32_e32 v32, v7, v3
	v_sub_f32_e32 v36, v14, v6
	v_sub_f32_e32 v119, v6, v14
	v_add_f32_e32 v120, v7, v3
	v_sub_f32_e32 v33, v6, v2
	v_sub_f32_e32 v37, v15, v7
	;; [unrolled: 1-line block ×4, first 2 shown]
	v_add_f32_e32 v122, v14, v10
	v_sub_f32_e32 v35, v14, v10
	v_add_f32_e32 v123, v15, v11
	v_add_f32_e32 v14, v94, v16
	;; [unrolled: 1-line block ×7, first 2 shown]
	v_sub_f32_e32 v21, v8, v0
	v_add_f32_e32 v103, v4, v0
	v_sub_f32_e32 v23, v9, v1
	v_sub_f32_e32 v31, v4, v0
	;; [unrolled: 1-line block ×8, first 2 shown]
	v_add_f32_e32 v134, v60, v64
	v_sub_f32_e32 v135, v60, v64
	v_add_f32_e32 v12, v39, v61
	v_add_f32_e32 v13, v67, v62
	;; [unrolled: 1-line block ×4, first 2 shown]
	v_sub_f32_e32 v4, v11, v3
	v_sub_f32_e32 v60, v3, v11
	v_add_f32_e32 v0, v18, v0
	v_add_f32_e32 v1, v5, v1
	;; [unrolled: 1-line block ×5, first 2 shown]
	v_sub_f32_e32 v128, v16, v59
	v_sub_f32_e32 v129, v59, v16
	;; [unrolled: 1-line block ×3, first 2 shown]
	v_add_f32_e32 v5, v12, v65
	v_add_f32_e32 v6, v13, v66
	;; [unrolled: 1-line block ×4, first 2 shown]
	ds_read2_b64 v[12:15], v80 offset0:64 offset1:160
	v_add_f32_e32 v141, v0, v8
	v_add_f32_e32 v9, v1, v9
	;; [unrolled: 1-line block ×4, first 2 shown]
	ds_read2_b64 v[0:3], v79 offset1:96
	v_add_f32_e32 v10, v5, v89
	v_add_f32_e32 v11, v6, v90
	;; [unrolled: 1-line block ×3, first 2 shown]
	ds_read2_b64 v[5:8], v78 offset0:64 offset1:160
	v_add_f32_e32 v145, v16, v88
	v_add_f32_e32 v104, v61, v65
	v_sub_f32_e32 v85, v61, v65
	v_sub_f32_e32 v26, v19, v62
	v_add_f32_e32 v105, v62, v66
	v_sub_f32_e32 v83, v62, v66
	v_sub_f32_e32 v109, v62, v19
	;; [unrolled: 1-line block ×3, first 2 shown]
	v_add_f32_e32 v108, v19, v90
	v_add_f32_e32 v126, v17, v88
	v_sub_f32_e32 v127, v17, v88
	v_sub_f32_e32 v139, v88, v64
	v_sub_f32_e32 v140, v64, v88
	v_add_nc_u32_e32 v81, 0x4c00, v69
	v_sub_f32_e32 v25, v89, v65
	s_waitcnt lgkmcnt(1)
	v_add_f32_e32 v16, v12, v0
	v_sub_f32_e32 v27, v90, v66
	v_sub_f32_e32 v107, v65, v89
	;; [unrolled: 1-line block ×3, first 2 shown]
	v_add_f32_e32 v133, v59, v63
	s_waitcnt lgkmcnt(0)
	v_add_f32_e32 v39, v16, v5
	v_add_f32_e32 v16, v13, v1
	v_sub_f32_e32 v136, v59, v63
	v_sub_f32_e32 v137, v87, v63
	;; [unrolled: 1-line block ×4, first 2 shown]
	v_add_f32_e32 v61, v16, v6
	v_add_f32_e32 v16, v14, v2
	v_sub_f32_e32 v84, v1, v6
	v_sub_f32_e32 v68, v5, v0
	;; [unrolled: 1-line block ×4, first 2 shown]
	v_add_f32_e32 v62, v16, v7
	v_add_f32_e32 v16, v15, v3
	v_sub_f32_e32 v150, v7, v2
	v_sub_f32_e32 v153, v3, v8
	;; [unrolled: 1-line block ×3, first 2 shown]
	v_add_f32_e32 v67, v121, v60
	v_add_f32_e32 v64, v16, v8
	ds_read2_b64 v[16:19], v82 offset0:128 offset1:224
	v_fma_f32 v121, -0.5, v103, v98
	v_fma_f32 v88, -0.5, v117, v99
	v_add_f32_e32 v117, v22, v23
	v_fma_f32 v60, -0.5, v118, v100
	v_add_f32_e32 v118, v24, v25
	v_add_f32_e32 v106, v106, v107
	;; [unrolled: 1-line block ×4, first 2 shown]
	s_waitcnt lgkmcnt(0)
	v_add_f32_e32 v66, v5, v16
	v_add_f32_e32 v65, v6, v17
	v_sub_f32_e32 v63, v6, v17
	v_sub_f32_e32 v59, v5, v16
	v_add_f32_e32 v147, v7, v18
	v_sub_f32_e32 v148, v8, v19
	v_add_f32_e32 v151, v8, v19
	v_sub_f32_e32 v152, v7, v18
	ds_read2_b64 v[5:8], v81 offset0:64 offset1:160
	v_fma_f32 v66, -0.5, v66, v12
	s_waitcnt lgkmcnt(0)
	v_fma_f32 v103, -0.5, v151, v15
	s_barrier
	buffer_gl0_inv
	v_sub_f32_e32 v89, v0, v5
	v_add_f32_e32 v156, v0, v5
	v_add_f32_e32 v0, v39, v16
	v_fma_f32 v39, -0.5, v120, v101
	v_fma_f32 v120, -0.5, v102, v99
	v_add_f32_e32 v158, v2, v7
	v_sub_f32_e32 v159, v2, v7
	v_add_f32_e32 v165, v0, v5
	v_fma_f32 v0, -0.5, v115, v96
	v_add_f32_e32 v115, v20, v21
	v_fmamk_f32 v20, v30, 0x3f737871, v120
	v_fmamk_f32 v21, v28, 0xbf737871, v121
	v_add_f32_e32 v2, v62, v18
	v_sub_f32_e32 v161, v7, v18
	v_sub_f32_e32 v162, v18, v7
	v_fmac_f32_e32 v20, 0x3f167918, v31
	v_fmac_f32_e32 v21, 0xbf167918, v29
	v_add_f32_e32 v18, v2, v7
	v_fmac_f32_e32 v101, -0.5, v123
	v_fma_f32 v2, -0.5, v116, v98
	v_fmac_f32_e32 v20, 0x3e9e377a, v117
	v_fmac_f32_e32 v21, 0x3e9e377a, v115
	v_fma_f32 v116, -0.5, v105, v97
	v_fmac_f32_e32 v97, -0.5, v108
	v_add_f32_e32 v108, v109, v110
	v_mul_f32_e32 v24, 0xbf167918, v20
	v_add_f32_e32 v109, v111, v112
	v_add_f32_e32 v110, v113, v114
	v_fmamk_f32 v111, v31, 0xbf737871, v88
	v_fma_f32 v114, -0.5, v104, v96
	v_fmac_f32_e32 v24, 0x3f4f1bbd, v21
	v_mul_f32_e32 v21, 0x3f167918, v21
	v_fmac_f32_e32 v120, 0xbf737871, v30
	v_sub_f32_e32 v90, v1, v6
	v_add_f32_e32 v155, v1, v6
	v_add_f32_e32 v1, v61, v17
	v_fmamk_f32 v61, v33, 0xbf737871, v101
	v_fmac_f32_e32 v101, 0x3f737871, v33
	v_fmamk_f32 v113, v29, 0x3f737871, v2
	v_fmac_f32_e32 v21, 0x3f4f1bbd, v20
	;; [unrolled: 2-line block ×3, first 2 shown]
	v_fmac_f32_e32 v121, 0x3f737871, v28
	v_fmac_f32_e32 v120, 0xbf167918, v31
	;; [unrolled: 1-line block ×3, first 2 shown]
	v_sub_f32_e32 v157, v3, v8
	v_add_f32_e32 v160, v3, v8
	v_fmac_f32_e32 v101, 0xbf167918, v35
	v_fmamk_f32 v112, v85, 0xbf737871, v97
	v_fmac_f32_e32 v2, 0xbf737871, v29
	v_fma_f32 v102, -0.5, v147, v14
	v_fmac_f32_e32 v20, 0xbf167918, v83
	v_fmamk_f32 v25, v86, 0x3f737871, v116
	v_fmac_f32_e32 v111, 0x3e9e377a, v110
	v_fmac_f32_e32 v113, 0xbf167918, v28
	v_fmac_f32_e32 v116, 0xbf737871, v86
	v_fmac_f32_e32 v121, 0x3f167918, v29
	v_fmac_f32_e32 v120, 0x3e9e377a, v117
	v_fmac_f32_e32 v114, 0x3f167918, v83
	v_fmac_f32_e32 v101, 0x3e9e377a, v67
	v_fma_f32 v62, -0.5, v122, v100
	v_fmac_f32_e32 v88, 0x3f737871, v31
	v_fmac_f32_e32 v2, 0x3f167918, v28
	v_fma_f32 v96, -0.5, v133, v94
	v_fma_f32 v100, -0.5, v125, v94
	v_add_f32_e32 v94, v119, v124
	v_fma_f32 v105, -0.5, v160, v15
	v_add_f32_e32 v119, v26, v27
	v_fmac_f32_e32 v25, 0x3f167918, v85
	v_fmac_f32_e32 v20, 0x3e9e377a, v118
	;; [unrolled: 1-line block ×4, first 2 shown]
	v_mul_f32_e32 v27, 0x3e9e377a, v111
	v_fmac_f32_e32 v116, 0xbf167918, v85
	v_fmac_f32_e32 v114, 0x3e9e377a, v118
	;; [unrolled: 1-line block ×3, first 2 shown]
	v_mul_f32_e32 v31, 0xbf4f1bbd, v120
	v_fmamk_f32 v118, v157, 0xbf737871, v102
	v_sub_f32_e32 v93, v5, v16
	v_sub_f32_e32 v92, v6, v17
	;; [unrolled: 1-line block ×6, first 2 shown]
	v_add_f32_e32 v166, v1, v6
	v_mul_f32_e32 v6, 0xbf737871, v101
	v_mul_f32_e32 v7, 0xbe9e377a, v101
	v_fmac_f32_e32 v97, 0x3f737871, v85
	v_fmac_f32_e32 v88, 0xbf167918, v30
	v_fmac_f32_e32 v2, 0x3e9e377a, v109
	v_fma_f32 v99, -0.5, v134, v95
	v_fma_f32 v101, -0.5, v126, v95
	;; [unrolled: 1-line block ×3, first 2 shown]
	v_fmac_f32_e32 v25, 0x3e9e377a, v119
	v_fmac_f32_e32 v112, 0x3e9e377a, v108
	;; [unrolled: 1-line block ×3, first 2 shown]
	v_fmamk_f32 v107, v83, 0x3f737871, v0
	v_fmac_f32_e32 v116, 0x3e9e377a, v119
	v_mul_f32_e32 v30, 0xbf167918, v120
	v_fmac_f32_e32 v31, 0x3f167918, v121
	v_add_f32_e32 v109, v149, v161
	v_fmac_f32_e32 v0, 0xbf737871, v83
	v_fmac_f32_e32 v102, 0x3f737871, v157
	v_fmamk_f32 v119, v152, 0xbf737871, v105
	v_fmamk_f32 v120, v159, 0x3f737871, v103
	v_fmac_f32_e32 v103, 0xbf737871, v159
	v_fmac_f32_e32 v118, 0xbf167918, v148
	v_mul_f32_e32 v26, 0xbf737871, v111
	v_fmac_f32_e32 v97, 0xbf167918, v86
	v_fmac_f32_e32 v88, 0x3e9e377a, v110
	v_add_f32_e32 v23, v25, v21
	v_sub_f32_e32 v21, v25, v21
	v_fmac_f32_e32 v107, 0xbf167918, v57
	v_add_f32_e32 v25, v112, v27
	v_sub_f32_e32 v27, v112, v27
	;; [unrolled: 3-line block ×3, first 2 shown]
	v_add_f32_e32 v110, v153, v163
	v_add_f32_e32 v112, v154, v164
	v_fmac_f32_e32 v0, 0x3f167918, v57
	v_fmamk_f32 v115, v136, 0xbf737871, v101
	v_fmac_f32_e32 v101, 0x3f737871, v136
	v_fmamk_f32 v116, v130, 0x3f737871, v99
	;; [unrolled: 2-line block ×3, first 2 shown]
	v_fmac_f32_e32 v104, 0xbf737871, v148
	v_fmac_f32_e32 v105, 0x3f737871, v152
	;; [unrolled: 1-line block ×8, first 2 shown]
	v_fmamk_f32 v113, v135, 0x3f737871, v100
	v_fmac_f32_e32 v100, 0xbf737871, v135
	v_fmac_f32_e32 v97, 0x3e9e377a, v108
	v_fmac_f32_e32 v107, 0x3e9e377a, v106
	v_add_f32_e32 v28, v114, v30
	v_sub_f32_e32 v30, v114, v30
	v_add_f32_e32 v108, v131, v139
	v_add_f32_e32 v85, v132, v140
	;; [unrolled: 1-line block ×3, first 2 shown]
	v_fmamk_f32 v114, v127, 0xbf737871, v96
	v_fmac_f32_e32 v96, 0x3f737871, v127
	v_fmac_f32_e32 v115, 0x3f167918, v130
	;; [unrolled: 1-line block ×9, first 2 shown]
	v_mul_u32_u24_e32 v106, 10, v40
	v_add_nc_u16 v86, v40, 0x60
	v_fmac_f32_e32 v119, 0x3e9e377a, v112
	v_fmac_f32_e32 v120, 0x3e9e377a, v110
	;; [unrolled: 1-line block ×4, first 2 shown]
	v_mul_f32_e32 v109, 0x3f167918, v118
	v_add_f32_e32 v83, v129, v138
	v_fmac_f32_e32 v113, 0xbf167918, v127
	v_fmac_f32_e32 v100, 0x3f167918, v127
	v_add_f32_e32 v3, v64, v19
	v_mul_f32_e32 v1, 0xbe9e377a, v88
	v_fma_f32 v64, -0.5, v65, v13
	v_fmac_f32_e32 v13, -0.5, v155
	v_fma_f32 v98, -0.5, v156, v12
	v_add_f32_e32 v22, v20, v24
	v_sub_f32_e32 v20, v20, v24
	v_add_f32_e32 v24, v107, v26
	v_sub_f32_e32 v26, v107, v26
	v_add_f32_e32 v107, v128, v137
	v_fmac_f32_e32 v114, 0xbf167918, v135
	v_fmac_f32_e32 v96, 0x3f167918, v135
	;; [unrolled: 1-line block ×4, first 2 shown]
	v_add_nc_u32_e32 v85, 0xc0, v40
	v_fmac_f32_e32 v117, 0x3e9e377a, v111
	v_fmac_f32_e32 v104, 0x3e9e377a, v111
	;; [unrolled: 1-line block ×3, first 2 shown]
	v_mov_b32_e32 v111, 0xcccd
	v_lshl_add_u32 v121, v106, 3, 0
	v_fmac_f32_e32 v116, 0x3e9e377a, v108
	v_mul_f32_e32 v106, 0xbf737871, v88
	v_fmac_f32_e32 v99, 0x3e9e377a, v108
	v_mul_f32_e32 v108, 0xbf167918, v120
	v_and_b32_e32 v88, 0xff, v86
	v_mul_f32_e32 v110, 0xbf737871, v119
	v_mul_f32_e32 v112, 0x3e9e377a, v119
	v_fmac_f32_e32 v109, 0x3f4f1bbd, v120
	v_mul_f32_e32 v120, 0xbf4f1bbd, v103
	v_fmamk_f32 v126, v35, 0x3f737871, v39
	v_fmac_f32_e32 v39, 0xbf737871, v35
	v_fmac_f32_e32 v113, 0x3e9e377a, v83
	;; [unrolled: 1-line block ×3, first 2 shown]
	v_add_nc_u32_e32 v83, 0x120, v40
	v_fmac_f32_e32 v1, 0x3f737871, v2
	v_fmamk_f32 v65, v59, 0xbf737871, v13
	v_fmac_f32_e32 v13, 0x3f737871, v59
	v_fmac_f32_e32 v114, 0x3e9e377a, v107
	v_fmac_f32_e32 v96, 0x3e9e377a, v107
	v_and_b32_e32 v107, 0xff, v40
	v_fmac_f32_e32 v106, 0xbe9e377a, v2
	v_fmac_f32_e32 v108, 0x3f4f1bbd, v118
	v_mul_f32_e32 v118, 0xbf737871, v105
	v_mul_f32_e32 v119, 0xbe9e377a, v105
	v_fmac_f32_e32 v110, 0x3e9e377a, v117
	v_fmac_f32_e32 v112, 0x3f737871, v117
	v_mul_f32_e32 v117, 0xbf167918, v103
	v_mul_u32_u24_sdwa v122, v85, v111 dst_sel:DWORD dst_unused:UNUSED_PAD src0_sel:WORD_0 src1_sel:DWORD
	v_fmac_f32_e32 v120, 0x3f167918, v102
	v_fmamk_f32 v38, v63, 0x3f737871, v98
	v_fmac_f32_e32 v98, 0xbf737871, v63
	v_fmac_f32_e32 v126, 0x3f167918, v33
	;; [unrolled: 1-line block ×3, first 2 shown]
	v_mul_lo_u16 v33, 0xcd, v88
	v_mul_u32_u24_sdwa v123, v83, v111 dst_sel:DWORD dst_unused:UNUSED_PAD src0_sel:WORD_0 src1_sel:DWORD
	v_add_f32_e32 v19, v3, v8
	v_add_f32_e32 v3, v97, v1
	v_sub_f32_e32 v1, v97, v1
	v_fmamk_f32 v97, v32, 0x3f737871, v62
	v_fmac_f32_e32 v62, 0xbf737871, v32
	v_fmac_f32_e32 v13, 0xbf167918, v89
	;; [unrolled: 1-line block ×5, first 2 shown]
	v_mul_lo_u16 v125, 0xcd, v107
	v_add_f32_e32 v2, v0, v106
	v_sub_f32_e32 v0, v0, v106
	v_add_f32_e32 v102, v114, v108
	v_add_f32_e32 v103, v116, v109
	v_sub_f32_e32 v104, v114, v108
	v_sub_f32_e32 v105, v116, v109
	v_add_f32_e32 v106, v113, v110
	v_add_f32_e32 v107, v115, v112
	v_sub_f32_e32 v108, v113, v110
	v_sub_f32_e32 v109, v115, v112
	v_add_f32_e32 v113, v99, v120
	v_sub_f32_e32 v115, v99, v120
	v_add_f32_e32 v37, v68, v91
	v_fmamk_f32 v68, v90, 0xbf737871, v66
	v_fmac_f32_e32 v66, 0x3f737871, v90
	v_fmac_f32_e32 v38, 0xbf167918, v90
	v_fmac_f32_e32 v98, 0x3f167918, v90
	v_fmamk_f32 v120, v89, 0x3f737871, v64
	v_fmac_f32_e32 v64, 0xbf737871, v89
	v_fmac_f32_e32 v65, 0x3f167918, v89
	;; [unrolled: 1-line block ×3, first 2 shown]
	v_fmamk_f32 v35, v34, 0xbf737871, v60
	v_fmac_f32_e32 v60, 0x3f737871, v34
	v_lshrrev_b32_e32 v90, 19, v122
	v_lshrrev_b16 v89, 11, v33
	v_add_f32_e32 v84, v84, v92
	v_lshrrev_b32_e32 v92, 19, v123
	v_fmac_f32_e32 v62, 0x3f167918, v34
	v_fmac_f32_e32 v97, 0xbf167918, v34
	;; [unrolled: 1-line block ×6, first 2 shown]
	v_mul_lo_u16 v32, v90, 10
	v_fmac_f32_e32 v126, 0x3e9e377a, v4
	v_mul_lo_u16 v37, v89, 10
	v_add_f32_e32 v95, v146, v16
	v_mul_lo_u16 v33, v92, 10
	v_fmac_f32_e32 v120, 0x3f167918, v59
	v_fmac_f32_e32 v64, 0xbf167918, v59
	;; [unrolled: 1-line block ×5, first 2 shown]
	v_mov_b32_e32 v57, 5
	v_mul_u32_u24_sdwa v124, v58, v111 dst_sel:DWORD dst_unused:UNUSED_PAD src0_sel:WORD_0 src1_sel:DWORD
	v_add_f32_e32 v112, v96, v117
	v_sub_f32_e32 v114, v96, v117
	v_fmac_f32_e32 v97, 0x3e9e377a, v94
	v_sub_nc_u16 v94, v85, v32
	v_fmac_f32_e32 v35, 0x3e9e377a, v36
	v_fmac_f32_e32 v60, 0x3e9e377a, v36
	v_mul_f32_e32 v36, 0xbf167918, v126
	v_sub_nc_u16 v96, v86, v37
	v_fmac_f32_e32 v13, 0x3e9e377a, v95
	v_fmac_f32_e32 v65, 0x3e9e377a, v95
	v_sub_nc_u16 v95, v83, v33
	v_add_f32_e32 v87, v87, v93
	v_fmac_f32_e32 v66, 0x3f167918, v63
	v_fmac_f32_e32 v120, 0x3e9e377a, v84
	;; [unrolled: 1-line block ×3, first 2 shown]
	v_mul_f32_e32 v67, 0xbf737871, v61
	v_mul_f32_e32 v61, 0x3e9e377a, v61
	;; [unrolled: 1-line block ×4, first 2 shown]
	v_fmac_f32_e32 v68, 0xbf167918, v63
	v_lshrrev_b32_e32 v91, 19, v124
	v_lshrrev_b16 v93, 11, v125
	v_mul_f32_e32 v59, 0x3f167918, v35
	v_fmac_f32_e32 v36, 0x3f4f1bbd, v35
	v_mul_u32_u24_sdwa v32, v94, v57 dst_sel:DWORD dst_unused:UNUSED_PAD src0_sel:WORD_0 src1_sel:DWORD
	v_mul_u32_u24_sdwa v35, v96, v57 dst_sel:DWORD dst_unused:UNUSED_PAD src0_sel:BYTE_0 src1_sel:DWORD
	v_mul_u32_u24_sdwa v33, v95, v57 dst_sel:DWORD dst_unused:UNUSED_PAD src0_sel:WORD_0 src1_sel:DWORD
	v_fmac_f32_e32 v66, 0x3e9e377a, v87
	v_fmac_f32_e32 v61, 0x3f737871, v97
	;; [unrolled: 1-line block ×5, first 2 shown]
	v_add_f32_e32 v14, v10, v141
	v_add_f32_e32 v15, v11, v9
	v_add_nc_u32_e32 v99, 0x1e00, v121
	v_mul_lo_u16 v34, v91, 10
	v_mul_lo_u16 v4, v93, 10
	v_fmac_f32_e32 v68, 0x3e9e377a, v87
	v_fmac_f32_e32 v59, 0x3f4f1bbd, v126
	;; [unrolled: 1-line block ×4, first 2 shown]
	v_lshlrev_b32_e32 v124, 3, v32
	v_lshlrev_b32_e32 v126, 3, v35
	v_add_nc_u32_e32 v116, 0x1e10, v121
	v_lshlrev_b32_e32 v125, 3, v33
	v_sub_f32_e32 v16, v10, v141
	v_sub_f32_e32 v17, v11, v9
	v_add_nc_u32_e32 v117, 0x1e20, v121
	v_add_f32_e32 v110, v100, v118
	v_sub_f32_e32 v100, v100, v118
	v_add_nc_u32_e32 v118, 0x1e30, v121
	v_add_f32_e32 v111, v101, v119
	;; [unrolled: 3-line block ×3, first 2 shown]
	v_sub_f32_e32 v39, v65, v61
	v_sub_f32_e32 v61, v66, v84
	;; [unrolled: 1-line block ×3, first 2 shown]
	v_add_f32_e32 v5, v13, v7
	v_sub_f32_e32 v7, v13, v7
	v_add_f32_e32 v8, v144, v18
	v_add_f32_e32 v9, v145, v19
	v_sub_f32_e32 v10, v144, v18
	v_sub_f32_e32 v11, v145, v19
	v_add_f32_e32 v18, v165, v142
	v_add_f32_e32 v19, v166, v143
	v_sub_f32_e32 v12, v165, v142
	v_sub_f32_e32 v13, v166, v143
	v_add_nc_u32_e32 v127, 0x3c00, v121
	v_add_nc_u32_e32 v63, 0x3c10, v121
	;; [unrolled: 1-line block ×5, first 2 shown]
	v_sub_nc_u16 v87, v58, v34
	v_sub_nc_u16 v97, v40, v4
	v_add_f32_e32 v4, v98, v6
	v_sub_f32_e32 v6, v98, v6
	v_add_f32_e32 v32, v68, v36
	v_add_f32_e32 v33, v120, v59
	v_sub_f32_e32 v34, v68, v36
	v_sub_f32_e32 v35, v120, v59
	v_add_f32_e32 v36, v38, v67
	v_sub_f32_e32 v38, v38, v67
	v_add_f32_e32 v59, v66, v84
	v_add_f32_e32 v60, v64, v123
	ds_write2_b64 v99, v[14:15], v[22:23] offset1:1
	ds_write2_b64 v116, v[24:25], v[2:3] offset1:1
	;; [unrolled: 1-line block ×8, first 2 shown]
	ds_write2_b64 v121, v[106:107], v[110:111] offset0:2 offset1:3
	ds_write2_b64 v121, v[112:113], v[10:11] offset0:4 offset1:5
	;; [unrolled: 1-line block ×4, first 2 shown]
	ds_write2_b64 v128, v[59:60], v[12:13] offset1:1
	ds_write2_b64 v122, v[34:35], v[38:39] offset1:1
	;; [unrolled: 1-line block ×3, first 2 shown]
	s_waitcnt lgkmcnt(0)
	s_barrier
	buffer_gl0_inv
	s_clause 0x2
	global_load_dwordx2 v[65:66], v126, s[8:9] offset:32
	global_load_dwordx2 v[67:68], v124, s[8:9] offset:32
	;; [unrolled: 1-line block ×3, first 2 shown]
	v_mul_u32_u24_sdwa v0, v87, v57 dst_sel:DWORD dst_unused:UNUSED_PAD src0_sel:WORD_0 src1_sel:DWORD
	v_mul_u32_u24_sdwa v1, v97, v57 dst_sel:DWORD dst_unused:UNUSED_PAD src0_sel:BYTE_0 src1_sel:DWORD
	v_mov_b32_e32 v106, 0x1e0
	v_mov_b32_e32 v84, 3
	v_mul_u32_u24_e32 v90, 0x1e0, v90
	v_lshlrev_b32_e32 v0, 3, v0
	v_lshlrev_b32_e32 v36, 3, v1
	s_clause 0xb
	global_load_dwordx2 v[63:64], v0, s[8:9] offset:32
	global_load_dwordx2 v[59:60], v36, s[8:9] offset:32
	global_load_dwordx4 v[20:23], v0, s[8:9] offset:16
	global_load_dwordx4 v[8:11], v125, s[8:9] offset:16
	;; [unrolled: 1-line block ×5, first 2 shown]
	global_load_dwordx4 v[16:19], v0, s[8:9]
	global_load_dwordx4 v[4:7], v125, s[8:9]
	;; [unrolled: 1-line block ×5, first 2 shown]
	ds_read2_b64 v[98:101], v81 offset0:64 offset1:160
	v_mul_u32_u24_sdwa v93, v93, v106 dst_sel:DWORD dst_unused:UNUSED_PAD src0_sel:WORD_0 src1_sel:DWORD
	ds_read2_b64 v[102:105], v72 offset0:128 offset1:224
	v_mul_u32_u24_e32 v92, 0x1e0, v92
	v_mul_u32_u24_e32 v112, 0x1e0, v91
	v_lshlrev_b32_sdwa v91, v84, v97 dst_sel:DWORD dst_unused:UNUSED_PAD src0_sel:DWORD src1_sel:BYTE_0
	v_lshlrev_b32_sdwa v94, v84, v94 dst_sel:DWORD dst_unused:UNUSED_PAD src0_sel:DWORD src1_sel:WORD_0
	v_lshlrev_b32_sdwa v95, v84, v95 dst_sel:DWORD dst_unused:UNUSED_PAD src0_sel:DWORD src1_sel:WORD_0
	v_mul_u32_u24_sdwa v97, v89, v106 dst_sel:DWORD dst_unused:UNUSED_PAD src0_sel:WORD_0 src1_sel:DWORD
	v_lshlrev_b32_sdwa v96, v84, v96 dst_sel:DWORD dst_unused:UNUSED_PAD src0_sel:DWORD src1_sel:BYTE_0
	v_add3_u32 v113, 0, v93, v91
	v_add3_u32 v114, 0, v90, v94
	;; [unrolled: 1-line block ×3, first 2 shown]
	ds_read2_b64 v[89:92], v75 offset1:96
	v_add3_u32 v116, 0, v97, v96
	ds_read2_b64 v[93:96], v76 offset0:64 offset1:160
	ds_read2_b64 v[106:109], v71 offset0:64 offset1:160
	v_mov_b32_e32 v110, 0x8889
	v_mul_lo_u16 v88, 0x89, v88
	v_mul_u32_u24_sdwa v111, v85, v110 dst_sel:DWORD dst_unused:UNUSED_PAD src0_sel:WORD_0 src1_sel:DWORD
	v_lshrrev_b16 v88, 13, v88
	s_waitcnt vmcnt(14) lgkmcnt(4)
	v_mul_f32_e32 v117, v99, v66
	v_mul_f32_e32 v66, v98, v66
	s_waitcnt vmcnt(13)
	v_mul_f32_e32 v118, v101, v68
	v_mul_f32_e32 v68, v100, v68
	s_waitcnt vmcnt(12) lgkmcnt(3)
	v_mul_f32_e32 v119, v103, v62
	v_mul_f32_e32 v62, v102, v62
	v_fmac_f32_e32 v117, v98, v65
	v_fma_f32 v120, v99, v65, -v66
	v_fmac_f32_e32 v118, v100, v67
	v_fma_f32 v101, v101, v67, -v68
	ds_read2_b64 v[65:68], v70 offset1:96
	s_waitcnt vmcnt(11)
	v_mul_f32_e32 v121, v105, v64
	v_mul_f32_e32 v64, v104, v64
	v_fmac_f32_e32 v119, v102, v61
	v_fma_f32 v102, v103, v61, -v62
	s_waitcnt vmcnt(10) lgkmcnt(3)
	v_mul_f32_e32 v103, v92, v60
	v_mul_f32_e32 v60, v91, v60
	ds_read2_b64 v[97:100], v82 offset0:128 offset1:224
	v_fmac_f32_e32 v121, v104, v63
	v_fma_f32 v63, v105, v63, -v64
	s_waitcnt vmcnt(9)
	v_mul_f32_e32 v64, v90, v23
	v_mul_f32_e32 v23, v89, v23
	v_fmac_f32_e32 v103, v91, v59
	v_fma_f32 v91, v92, v59, -v60
	ds_read2_b64 v[59:62], v78 offset0:64 offset1:160
	s_waitcnt lgkmcnt(4)
	v_mul_f32_e32 v104, v96, v21
	v_mul_f32_e32 v21, v95, v21
	v_fmac_f32_e32 v64, v89, v22
	v_fma_f32 v89, v90, v22, -v23
	s_waitcnt vmcnt(8)
	v_mul_f32_e32 v90, v94, v9
	v_mul_f32_e32 v9, v93, v9
	v_fmac_f32_e32 v104, v95, v20
	v_fma_f32 v92, v96, v20, -v21
	ds_read2_b64 v[20:23], v79 offset1:96
	s_waitcnt lgkmcnt(4)
	v_mul_f32_e32 v95, v109, v11
	v_fmac_f32_e32 v90, v93, v8
	v_fma_f32 v93, v94, v8, -v9
	v_mul_f32_e32 v8, v108, v11
	s_waitcnt vmcnt(7)
	v_mul_f32_e32 v94, v107, v27
	v_mul_f32_e32 v9, v106, v27
	s_waitcnt lgkmcnt(3)
	v_mul_f32_e32 v96, v68, v25
	v_fmac_f32_e32 v95, v108, v10
	v_fma_f32 v105, v109, v10, -v8
	v_mul_f32_e32 v25, v67, v25
	v_fmac_f32_e32 v94, v106, v26
	v_fma_f32 v106, v107, v26, -v9
	ds_read2_b64 v[8:11], v73 offset0:128 offset1:224
	s_waitcnt vmcnt(6)
	v_mul_f32_e32 v107, v66, v13
	v_mul_f32_e32 v13, v65, v13
	v_fmac_f32_e32 v96, v67, v24
	v_fma_f32 v67, v68, v24, -v25
	ds_read2_b64 v[24:27], v74 offset0:64 offset1:160
	v_fmac_f32_e32 v107, v65, v12
	v_fma_f32 v65, v66, v12, -v13
	s_waitcnt vmcnt(5) lgkmcnt(4)
	v_mul_f32_e32 v66, v98, v31
	v_mul_f32_e32 v13, v97, v31
	s_waitcnt lgkmcnt(3)
	v_mul_f32_e32 v108, v62, v29
	v_mul_f32_e32 v29, v61, v29
	;; [unrolled: 1-line block ×4, first 2 shown]
	v_fmac_f32_e32 v66, v97, v30
	v_fma_f32 v97, v98, v30, -v13
	s_waitcnt vmcnt(4)
	v_mul_f32_e32 v98, v60, v19
	v_mul_f32_e32 v19, v59, v19
	v_fmac_f32_e32 v108, v61, v28
	v_fma_f32 v61, v62, v28, -v29
	ds_read2_b64 v[28:31], v77 offset0:128 offset1:224
	v_fmac_f32_e32 v68, v99, v14
	v_fma_f32 v99, v100, v14, -v12
	ds_read2_b64 v[12:15], v53 offset0:64 offset1:160
	v_fmac_f32_e32 v98, v59, v18
	v_fma_f32 v59, v60, v18, -v19
	s_waitcnt vmcnt(3) lgkmcnt(4)
	v_mul_f32_e32 v60, v21, v5
	v_mul_f32_e32 v62, v23, v17
	;; [unrolled: 1-line block ×4, first 2 shown]
	s_waitcnt lgkmcnt(3)
	v_mul_f32_e32 v100, v11, v7
	v_fmac_f32_e32 v60, v20, v4
	s_waitcnt vmcnt(2)
	v_mul_f32_e32 v20, v9, v3
	v_fmac_f32_e32 v62, v22, v16
	v_fma_f32 v22, v23, v16, -v17
	v_mul_f32_e32 v7, v10, v7
	v_fma_f32 v23, v21, v4, -v5
	ds_read2_b64 v[16:19], v69 offset1:96
	v_mul_f32_e32 v21, v8, v3
	s_waitcnt lgkmcnt(3)
	v_mul_f32_e32 v109, v27, v1
	v_fmac_f32_e32 v20, v8, v2
	v_mul_f32_e32 v1, v26, v1
	s_waitcnt vmcnt(1)
	v_mul_f32_e32 v122, v25, v33
	v_mul_f32_e32 v8, v24, v33
	v_fmac_f32_e32 v100, v10, v6
	v_fma_f32 v7, v11, v6, -v7
	ds_read2_b64 v[3:6], v80 offset0:64 offset1:160
	v_fmac_f32_e32 v109, v26, v0
	v_fma_f32 v26, v27, v0, -v1
	s_waitcnt vmcnt(0) lgkmcnt(3)
	v_mul_f32_e32 v27, v37, v31
	v_fmac_f32_e32 v122, v24, v32
	v_fma_f32 v24, v25, v32, -v8
	v_mul_f32_e32 v8, v37, v30
	s_waitcnt lgkmcnt(2)
	v_mul_f32_e32 v0, v14, v35
	v_mul_f32_e32 v1, v13, v39
	;; [unrolled: 1-line block ×3, first 2 shown]
	v_fmac_f32_e32 v27, v36, v30
	v_fma_f32 v25, v36, v31, -v8
	v_fma_f32 v2, v9, v2, -v21
	v_mul_f32_e32 v9, v15, v35
	v_fmac_f32_e32 v1, v12, v38
	v_fma_f32 v0, v15, v34, -v0
	v_fma_f32 v10, v13, v38, -v10
	v_add_f32_e32 v15, v25, v61
	v_add_f32_e32 v21, v27, v108
	v_fmac_f32_e32 v9, v14, v34
	s_waitcnt lgkmcnt(1)
	v_add_f32_e32 v8, v16, v1
	v_add_f32_e32 v11, v1, v66
	v_sub_f32_e32 v12, v1, v66
	v_add_f32_e32 v1, v17, v10
	v_add_f32_e32 v14, v61, v91
	;; [unrolled: 1-line block ×3, first 2 shown]
	v_sub_f32_e32 v31, v108, v103
	v_sub_f32_e32 v32, v61, v91
	v_add_f32_e32 v33, v0, v99
	v_add_f32_e32 v37, v107, v117
	;; [unrolled: 1-line block ×7, first 2 shown]
	v_sub_f32_e32 v13, v10, v97
	v_add_f32_e32 v10, v10, v97
	v_add_f32_e32 v34, v19, v0
	;; [unrolled: 1-line block ×3, first 2 shown]
	v_sub_f32_e32 v39, v107, v117
	v_add_f32_e32 v97, v1, v97
	v_add_f32_e32 v1, v7, v105
	v_fmac_f32_e32 v27, -0.5, v30
	v_add_f32_e32 v30, v23, v93
	v_fmac_f32_e32 v19, -0.5, v33
	;; [unrolled: 2-line block ×5, first 2 shown]
	v_add_f32_e32 v91, v92, v63
	s_waitcnt lgkmcnt(0)
	v_add_f32_e32 v107, v3, v20
	v_sub_f32_e32 v61, v9, v68
	v_add_f32_e32 v8, v8, v66
	v_add_f32_e32 v66, v9, v68
	;; [unrolled: 1-line block ×5, first 2 shown]
	v_sub_f32_e32 v117, v0, v99
	v_add_f32_e32 v0, v109, v96
	v_add_f32_e32 v36, v24, v65
	v_fmac_f32_e32 v25, -0.5, v14
	v_add_f32_e32 v14, v6, v7
	v_fmac_f32_e32 v24, -0.5, v35
	;; [unrolled: 2-line block ×6, first 2 shown]
	v_add_f32_e32 v91, v20, v94
	v_add_f32_e32 v34, v34, v99
	v_sub_f32_e32 v99, v20, v94
	v_add_f32_e32 v20, v107, v94
	v_add_f32_e32 v94, v26, v67
	v_add_f32_e32 v9, v9, v68
	v_add_f32_e32 v68, v2, v106
	v_sub_f32_e32 v107, v2, v106
	v_add_f32_e32 v106, v108, v106
	v_add_f32_e32 v108, v0, v118
	;; [unrolled: 1-line block ×3, first 2 shown]
	v_sub_f32_e32 v93, v93, v102
	v_add_f32_e32 v30, v30, v102
	v_add_f32_e32 v102, v98, v64
	;; [unrolled: 1-line block ×3, first 2 shown]
	v_sub_f32_e32 v67, v67, v101
	v_add_f32_e32 v94, v94, v101
	v_sub_f32_e32 v101, v100, v95
	v_add_f32_e32 v100, v100, v95
	v_add_f32_e32 v35, v35, v95
	v_sub_f32_e32 v95, v98, v64
	v_add_f32_e32 v98, v28, v98
	v_sub_f32_e32 v65, v65, v120
	;; [unrolled: 2-line block ×3, first 2 shown]
	v_sub_f32_e32 v90, v90, v119
	v_sub_f32_e32 v104, v104, v121
	v_fma_f32 v120, -0.5, v11, v16
	v_add_f32_e32 v16, v14, v105
	v_fmac_f32_e32 v26, -0.5, v0
	v_sub_f32_e32 v92, v92, v63
	v_sub_f32_e32 v59, v59, v89
	v_fma_f32 v125, -0.5, v68, v4
	v_fma_f32 v28, -0.5, v102, v28
	v_add_f32_e32 v63, v103, v63
	v_add_f32_e32 v68, v1, v89
	v_fmamk_f32 v89, v31, 0x3f5db3d7, v25
	v_add_f32_e32 v64, v98, v64
	v_add_f32_e32 v37, v37, v121
	v_fmac_f32_e32 v109, -0.5, v2
	v_fmac_f32_e32 v25, 0xbf5db3d7, v31
	v_fmamk_f32 v31, v39, 0x3f5db3d7, v24
	v_fma_f32 v123, -0.5, v10, v17
	v_fmac_f32_e32 v24, 0xbf5db3d7, v39
	v_fmamk_f32 v39, v61, 0x3f5db3d7, v19
	v_fmac_f32_e32 v19, 0xbf5db3d7, v61
	v_fmamk_f32 v61, v90, 0x3f5db3d7, v23
	;; [unrolled: 2-line block ×3, first 2 shown]
	v_fmac_f32_e32 v22, 0xbf5db3d7, v104
	v_add_f32_e32 v14, v16, v30
	v_sub_f32_e32 v16, v16, v30
	v_fmamk_f32 v30, v96, 0x3f5db3d7, v26
	v_add_f32_e32 v33, v33, v119
	v_fma_f32 v66, -0.5, v66, v18
	v_fma_f32 v124, -0.5, v91, v3
	v_fmamk_f32 v91, v32, 0xbf5db3d7, v27
	v_add_f32_e32 v0, v8, v21
	v_sub_f32_e32 v2, v8, v21
	v_add_f32_e32 v18, v68, v63
	v_sub_f32_e32 v21, v68, v63
	v_fmac_f32_e32 v26, 0xbf5db3d7, v96
	v_fmamk_f32 v104, v59, 0xbf5db3d7, v28
	v_fmac_f32_e32 v28, 0x3f5db3d7, v59
	v_mul_f32_e32 v59, 0xbf5db3d7, v89
	v_mul_f32_e32 v63, 0.5, v89
	v_sub_f32_e32 v119, v7, v105
	v_fma_f32 v100, -0.5, v100, v5
	v_fmac_f32_e32 v27, 0x3f5db3d7, v32
	v_add_f32_e32 v4, v9, v38
	v_add_f32_e32 v5, v34, v36
	v_sub_f32_e32 v7, v9, v38
	v_sub_f32_e32 v8, v34, v36
	v_add_f32_e32 v9, v20, v108
	v_sub_f32_e32 v11, v20, v108
	v_add_f32_e32 v17, v64, v37
	v_sub_f32_e32 v20, v64, v37
	v_fmamk_f32 v34, v67, 0xbf5db3d7, v109
	v_fmac_f32_e32 v109, 0x3f5db3d7, v67
	v_mul_f32_e32 v64, 0xbf5db3d7, v25
	v_mul_f32_e32 v67, -0.5, v25
	v_fmamk_f32 v32, v65, 0xbf5db3d7, v122
	v_fmac_f32_e32 v122, 0x3f5db3d7, v65
	v_fmamk_f32 v65, v93, 0xbf5db3d7, v60
	v_fmac_f32_e32 v60, 0x3f5db3d7, v93
	;; [unrolled: 2-line block ×3, first 2 shown]
	v_mul_f32_e32 v92, 0xbf5db3d7, v31
	v_mul_f32_e32 v31, 0.5, v31
	v_fmamk_f32 v102, v12, 0x3f5db3d7, v123
	v_fmac_f32_e32 v123, 0xbf5db3d7, v12
	v_add_f32_e32 v10, v106, v94
	v_sub_f32_e32 v12, v106, v94
	v_mul_f32_e32 v36, -0.5, v24
	v_mul_f32_e32 v38, -0.5, v23
	;; [unrolled: 1-line block ×3, first 2 shown]
	v_mul_f32_e32 v89, 0xbf5db3d7, v24
	v_mul_f32_e32 v94, 0xbf5db3d7, v30
	v_add_f32_e32 v1, v97, v15
	v_fmamk_f32 v98, v13, 0xbf5db3d7, v120
	v_sub_f32_e32 v3, v97, v15
	v_fmac_f32_e32 v120, 0x3f5db3d7, v13
	v_fmamk_f32 v103, v101, 0x3f5db3d7, v6
	v_fmac_f32_e32 v6, 0xbf5db3d7, v101
	v_fmamk_f32 v101, v95, 0x3f5db3d7, v29
	v_fmac_f32_e32 v29, 0xbf5db3d7, v95
	v_add_f32_e32 v13, v35, v33
	v_sub_f32_e32 v15, v35, v33
	v_fmamk_f32 v35, v107, 0xbf5db3d7, v124
	v_fmamk_f32 v37, v99, 0x3f5db3d7, v125
	v_fmac_f32_e32 v124, 0x3f5db3d7, v107
	v_fmac_f32_e32 v125, 0xbf5db3d7, v99
	v_mul_f32_e32 v95, 0.5, v30
	v_fmac_f32_e32 v59, 0.5, v91
	v_fmac_f32_e32 v63, 0x3f5db3d7, v91
	v_mul_f32_e32 v96, 0xbf5db3d7, v26
	v_mul_f32_e32 v99, -0.5, v26
	v_mul_f32_e32 v105, 0xbf5db3d7, v23
	v_mul_f32_e32 v106, 0xbf5db3d7, v61
	v_mul_f32_e32 v107, 0.5, v61
	v_fmac_f32_e32 v64, -0.5, v27
	v_fmac_f32_e32 v67, 0x3f5db3d7, v27
	v_mul_f32_e32 v108, 0xbf5db3d7, v22
	v_fmamk_f32 v33, v117, 0xbf5db3d7, v66
	v_fmac_f32_e32 v92, 0.5, v32
	v_fmac_f32_e32 v31, 0x3f5db3d7, v32
	v_fmac_f32_e32 v66, 0x3f5db3d7, v117
	;; [unrolled: 1-line block ×3, first 2 shown]
	v_fmac_f32_e32 v89, -0.5, v122
	v_fmac_f32_e32 v38, 0x3f5db3d7, v60
	v_fmac_f32_e32 v68, 0x3f5db3d7, v62
	v_fmac_f32_e32 v94, 0.5, v34
	v_fmamk_f32 v97, v119, 0xbf5db3d7, v100
	v_fmac_f32_e32 v100, 0x3f5db3d7, v119
	v_mul_f32_e32 v117, 0xbf5db3d7, v90
	v_mul_f32_e32 v119, 0.5, v90
	v_fmac_f32_e32 v95, 0x3f5db3d7, v34
	v_fmac_f32_e32 v96, -0.5, v109
	v_fmac_f32_e32 v99, 0x3f5db3d7, v109
	v_fmac_f32_e32 v105, -0.5, v60
	v_fmac_f32_e32 v106, 0.5, v65
	v_fmac_f32_e32 v107, 0x3f5db3d7, v65
	v_add_f32_e32 v22, v98, v59
	v_add_f32_e32 v23, v102, v63
	;; [unrolled: 1-line block ×4, first 2 shown]
	v_fmac_f32_e32 v108, -0.5, v62
	v_sub_f32_e32 v59, v98, v59
	v_sub_f32_e32 v60, v102, v63
	;; [unrolled: 1-line block ×4, first 2 shown]
	v_add_f32_e32 v63, v33, v92
	v_add_f32_e32 v64, v39, v31
	;; [unrolled: 1-line block ×3, first 2 shown]
	v_sub_f32_e32 v30, v19, v36
	v_add_f32_e32 v32, v6, v38
	v_sub_f32_e32 v34, v6, v38
	v_add_f32_e32 v36, v29, v68
	;; [unrolled: 2-line block ×3, first 2 shown]
	v_sub_f32_e32 v29, v66, v89
	v_sub_f32_e32 v89, v35, v94
	s_barrier
	buffer_gl0_inv
	v_fmac_f32_e32 v117, 0.5, v93
	v_fmac_f32_e32 v119, 0x3f5db3d7, v93
	v_sub_f32_e32 v65, v33, v92
	v_sub_f32_e32 v66, v39, v31
	v_add_f32_e32 v67, v35, v94
	v_add_f32_e32 v68, v37, v95
	v_sub_f32_e32 v90, v37, v95
	v_add_f32_e32 v91, v124, v96
	v_add_f32_e32 v92, v125, v99
	v_sub_f32_e32 v93, v124, v96
	v_sub_f32_e32 v94, v125, v99
	v_add_f32_e32 v31, v100, v105
	v_add_f32_e32 v95, v97, v106
	;; [unrolled: 1-line block ×3, first 2 shown]
	ds_write2_b64 v113, v[0:1], v[22:23] offset1:10
	ds_write2_b64 v113, v[24:25], v[2:3] offset0:20 offset1:30
	ds_write2_b64 v113, v[59:60], v[61:62] offset0:40 offset1:50
	ds_write2_b64 v116, v[4:5], v[63:64] offset1:10
	ds_write2_b64 v116, v[26:27], v[7:8] offset0:20 offset1:30
	ds_write2_b64 v116, v[65:66], v[29:30] offset0:40 offset1:50
	ds_write2_b64 v114, v[9:10], v[67:68] offset1:10
	ds_write2_b64 v114, v[91:92], v[11:12] offset0:20 offset1:30
	ds_write2_b64 v114, v[89:90], v[93:94] offset0:40 offset1:50
	ds_write2_b64 v115, v[13:14], v[95:96] offset1:10
	ds_write2_b64 v115, v[31:32], v[15:16] offset0:20 offset1:30
	v_lshrrev_b32_e32 v89, 21, v111
	v_lshlrev_b32_sdwa v2, v84, v87 dst_sel:DWORD dst_unused:UNUSED_PAD src0_sel:DWORD src1_sel:WORD_0
	v_mul_u32_u24_sdwa v4, v83, v110 dst_sel:DWORD dst_unused:UNUSED_PAD src0_sel:WORD_0 src1_sel:DWORD
	v_mul_lo_u16 v118, v88, 60
	v_sub_f32_e32 v33, v100, v105
	v_mul_lo_u16 v3, v89, 60
	v_sub_f32_e32 v97, v97, v106
	v_sub_f32_e32 v98, v103, v107
	;; [unrolled: 1-line block ×3, first 2 shown]
	v_add_f32_e32 v99, v104, v117
	v_add_f32_e32 v100, v101, v119
	v_sub_f32_e32 v0, v104, v117
	v_sub_f32_e32 v1, v101, v119
	v_add3_u32 v2, 0, v112, v2
	v_mul_u32_u24_sdwa v6, v58, v110 dst_sel:DWORD dst_unused:UNUSED_PAD src0_sel:WORD_0 src1_sel:DWORD
	v_lshrrev_b32_e32 v68, 21, v4
	v_add_f32_e32 v35, v28, v108
	v_sub_nc_u16 v87, v86, v118
	v_sub_nc_u16 v90, v85, v3
	ds_write2_b64 v115, v[97:98], v[33:34] offset0:40 offset1:50
	ds_write2_b64 v2, v[17:18], v[99:100] offset1:10
	ds_write2_b64 v2, v[35:36], v[20:21] offset0:20 offset1:30
	ds_write2_b64 v2, v[0:1], v[37:38] offset0:40 offset1:50
	v_lshrrev_b32_e32 v67, 21, v6
	v_mul_lo_u16 v0, v68, 60
	v_subrev_nc_u32_e32 v1, 60, v40
	v_mul_u32_u24_sdwa v5, v87, v57 dst_sel:DWORD dst_unused:UNUSED_PAD src0_sel:BYTE_0 src1_sel:DWORD
	v_mul_u32_u24_sdwa v3, v90, v57 dst_sel:DWORD dst_unused:UNUSED_PAD src0_sel:WORD_0 src1_sel:DWORD
	v_mul_lo_u16 v4, v67, 60
	v_sub_nc_u16 v86, v83, v0
	v_cndmask_b32_e64 v91, v1, v40, s0
	v_lshlrev_b32_e32 v2, 3, v5
	v_lshlrev_b32_e32 v3, 3, v3
	v_sub_nc_u16 v85, v58, v4
	v_mul_u32_u24_sdwa v4, v86, v57 dst_sel:DWORD dst_unused:UNUSED_PAD src0_sel:WORD_0 src1_sel:DWORD
	v_mov_b32_e32 v1, v41
	v_mul_i32_i24_e32 v0, 5, v91
	s_waitcnt lgkmcnt(0)
	s_barrier
	buffer_gl0_inv
	s_clause 0x1
	global_load_dwordx2 v[63:64], v2, s[8:9] offset:432
	global_load_dwordx2 v[65:66], v3, s[8:9] offset:432
	v_lshlrev_b32_e32 v4, 3, v4
	v_lshlrev_b64 v[0:1], 3, v[0:1]
	v_mul_u32_u24_sdwa v5, v85, v57 dst_sel:DWORD dst_unused:UNUSED_PAD src0_sel:WORD_0 src1_sel:DWORD
	v_mov_b32_e32 v96, 0xb40
	v_lshlrev_b32_e32 v91, 3, v91
	global_load_dwordx2 v[59:60], v4, s[8:9] offset:432
	v_mul_u32_u24_e32 v98, 0xb40, v89
	v_add_co_u32 v8, s0, s8, v0
	v_lshlrev_b32_e32 v5, 3, v5
	v_add_co_ci_u32_e64 v9, s0, s9, v1, s0
	s_clause 0xb
	global_load_dwordx2 v[61:62], v5, s[8:9] offset:432
	global_load_dwordx2 v[57:58], v[8:9], off offset:432
	global_load_dwordx4 v[24:27], v5, s[8:9] offset:416
	global_load_dwordx4 v[16:19], v4, s[8:9] offset:416
	;; [unrolled: 1-line block ×4, first 2 shown]
	global_load_dwordx4 v[36:39], v[8:9], off offset:416
	global_load_dwordx4 v[28:31], v5, s[8:9] offset:400
	global_load_dwordx4 v[12:15], v4, s[8:9] offset:400
	;; [unrolled: 1-line block ×4, first 2 shown]
	global_load_dwordx4 v[8:11], v[8:9], off offset:400
	ds_read2_b64 v[92:95], v81 offset0:64 offset1:160
	v_cmp_lt_u32_e64 s0, 59, v40
	v_mul_u32_u24_sdwa v96, v88, v96 dst_sel:DWORD dst_unused:UNUSED_PAD src0_sel:WORD_0 src1_sel:DWORD
	v_lshlrev_b32_sdwa v99, v84, v90 dst_sel:DWORD dst_unused:UNUSED_PAD src0_sel:DWORD src1_sel:WORD_0
	v_lshlrev_b32_sdwa v100, v84, v87 dst_sel:DWORD dst_unused:UNUSED_PAD src0_sel:DWORD src1_sel:BYTE_0
	ds_read2_b64 v[87:90], v72 offset0:128 offset1:224
	v_cndmask_b32_e64 v97, 0, 0xb40, s0
	v_add3_u32 v116, 0, v98, v99
	v_add3_u32 v117, 0, v96, v100
	;; [unrolled: 1-line block ×3, first 2 shown]
	ds_read2_b64 v[96:99], v75 offset1:96
	ds_read2_b64 v[100:103], v76 offset0:64 offset1:160
	ds_read2_b64 v[104:107], v71 offset0:64 offset1:160
	ds_read2_b64 v[108:111], v70 offset1:96
	ds_read2_b64 v[112:115], v82 offset0:128 offset1:224
	v_add_nc_u32_e32 v118, 0x400, v91
	v_add_nc_u32_e32 v119, 0x400, v116
	;; [unrolled: 1-line block ×3, first 2 shown]
	s_waitcnt vmcnt(14) lgkmcnt(6)
	v_mul_f32_e32 v121, v93, v64
	s_waitcnt vmcnt(13)
	v_mul_f32_e32 v122, v95, v66
	v_mul_f32_e32 v64, v92, v64
	;; [unrolled: 1-line block ×3, first 2 shown]
	v_fmac_f32_e32 v121, v92, v63
	v_fmac_f32_e32 v122, v94, v65
	s_waitcnt vmcnt(11) lgkmcnt(5)
	v_mul_f32_e32 v94, v90, v62
	v_fma_f32 v92, v93, v63, -v64
	v_mul_f32_e32 v93, v88, v60
	v_mul_f32_e32 v60, v87, v60
	;; [unrolled: 1-line block ×3, first 2 shown]
	v_fmac_f32_e32 v94, v89, v61
	s_waitcnt vmcnt(9) lgkmcnt(4)
	v_mul_f32_e32 v89, v97, v27
	v_mul_f32_e32 v27, v96, v27
	v_fma_f32 v66, v95, v65, -v66
	v_mul_f32_e32 v95, v99, v58
	v_mul_f32_e32 v63, v98, v58
	v_fmac_f32_e32 v93, v87, v59
	v_fma_f32 v87, v88, v59, -v60
	v_fma_f32 v88, v90, v61, -v62
	ds_read2_b64 v[58:61], v78 offset0:64 offset1:160
	v_fmac_f32_e32 v89, v96, v26
	v_fma_f32 v96, v97, v26, -v27
	s_waitcnt vmcnt(8) lgkmcnt(4)
	v_mul_f32_e32 v97, v101, v17
	v_mul_f32_e32 v17, v100, v17
	v_fmac_f32_e32 v95, v98, v57
	v_fma_f32 v57, v99, v57, -v63
	ds_read2_b64 v[62:65], v79 offset1:96
	v_mul_f32_e32 v90, v103, v25
	v_mul_f32_e32 v25, v102, v25
	s_waitcnt lgkmcnt(4)
	v_mul_f32_e32 v98, v107, v19
	v_fmac_f32_e32 v97, v100, v16
	v_fma_f32 v100, v101, v16, -v17
	s_waitcnt vmcnt(7)
	v_mul_f32_e32 v101, v105, v35
	v_mul_f32_e32 v35, v104, v35
	;; [unrolled: 1-line block ×3, first 2 shown]
	v_fmac_f32_e32 v90, v102, v24
	v_fma_f32 v99, v103, v24, -v25
	ds_read2_b64 v[24:27], v73 offset0:128 offset1:224
	s_waitcnt lgkmcnt(4)
	v_mul_f32_e32 v103, v111, v33
	v_mul_f32_e32 v33, v110, v33
	v_fmac_f32_e32 v98, v106, v18
	v_fmac_f32_e32 v101, v104, v34
	v_fma_f32 v104, v105, v34, -v35
	s_waitcnt vmcnt(6)
	v_mul_f32_e32 v105, v109, v21
	v_mul_f32_e32 v21, v108, v21
	s_waitcnt lgkmcnt(3)
	v_mul_f32_e32 v106, v115, v23
	v_mul_f32_e32 v23, v114, v23
	v_fma_f32 v102, v107, v18, -v19
	ds_read2_b64 v[16:19], v74 offset0:64 offset1:160
	v_fmac_f32_e32 v103, v110, v32
	v_fma_f32 v107, v111, v32, -v33
	ds_read2_b64 v[32:35], v53 offset0:64 offset1:160
	v_fmac_f32_e32 v105, v108, v20
	v_fma_f32 v108, v109, v20, -v21
	v_fmac_f32_e32 v106, v114, v22
	v_fma_f32 v110, v115, v22, -v23
	ds_read2_b64 v[20:23], v77 offset0:128 offset1:224
	s_waitcnt vmcnt(5)
	v_mul_f32_e32 v109, v113, v39
	v_mul_f32_e32 v39, v112, v39
	s_waitcnt lgkmcnt(5)
	v_mul_f32_e32 v111, v37, v61
	v_mul_f32_e32 v37, v37, v60
	s_waitcnt vmcnt(4) lgkmcnt(4)
	v_mul_f32_e32 v114, v65, v29
	v_fmac_f32_e32 v109, v112, v38
	v_fma_f32 v112, v113, v38, -v39
	v_fmac_f32_e32 v111, v36, v60
	v_fma_f32 v60, v36, v61, -v37
	ds_read2_b64 v[36:39], v69 offset1:96
	s_waitcnt vmcnt(3)
	v_mul_f32_e32 v61, v63, v13
	v_mul_f32_e32 v13, v62, v13
	;; [unrolled: 1-line block ×5, first 2 shown]
	v_fmac_f32_e32 v61, v62, v12
	v_fma_f32 v62, v63, v12, -v13
	s_waitcnt lgkmcnt(4)
	v_mul_f32_e32 v12, v26, v15
	s_waitcnt vmcnt(2)
	v_mul_f32_e32 v13, v25, v7
	v_mul_f32_e32 v7, v24, v7
	v_fmac_f32_e32 v113, v58, v30
	v_fma_f32 v58, v59, v30, -v31
	v_fmac_f32_e32 v114, v64, v28
	v_fma_f32 v59, v65, v28, -v29
	ds_read2_b64 v[28:31], v80 offset0:64 offset1:160
	v_mul_f32_e32 v64, v27, v15
	s_waitcnt lgkmcnt(4)
	v_mul_f32_e32 v15, v19, v5
	v_mul_f32_e32 v5, v18, v5
	v_fma_f32 v63, v27, v14, -v12
	s_waitcnt vmcnt(1)
	v_mul_f32_e32 v12, v17, v1
	v_mul_f32_e32 v1, v16, v1
	v_fmac_f32_e32 v13, v24, v6
	v_fma_f32 v6, v25, v6, -v7
	s_waitcnt vmcnt(0) lgkmcnt(3)
	v_mul_f32_e32 v7, v11, v33
	v_mul_f32_e32 v11, v11, v32
	s_waitcnt lgkmcnt(2)
	v_mul_f32_e32 v24, v9, v23
	v_fmac_f32_e32 v15, v18, v4
	v_fma_f32 v18, v19, v4, -v5
	v_mul_f32_e32 v4, v9, v22
	v_fmac_f32_e32 v64, v26, v14
	v_mul_f32_e32 v14, v35, v3
	v_mul_f32_e32 v3, v34, v3
	v_fmac_f32_e32 v12, v16, v0
	v_fma_f32 v16, v17, v0, -v1
	v_fma_f32 v1, v10, v33, -v11
	v_fmac_f32_e32 v24, v8, v22
	v_fma_f32 v17, v8, v23, -v4
	v_fmac_f32_e32 v14, v34, v2
	v_fmac_f32_e32 v7, v10, v32
	v_fma_f32 v0, v35, v2, -v3
	s_waitcnt lgkmcnt(1)
	v_add_f32_e32 v5, v37, v1
	v_add_f32_e32 v8, v60, v57
	;; [unrolled: 1-line block ×9, first 2 shown]
	v_sub_f32_e32 v4, v7, v109
	v_sub_f32_e32 v7, v1, v112
	v_add_f32_e32 v1, v1, v112
	v_sub_f32_e32 v19, v111, v95
	v_sub_f32_e32 v22, v60, v57
	;; [unrolled: 1-line block ×3, first 2 shown]
	v_add_f32_e32 v26, v16, v108
	v_add_f32_e32 v33, v0, v110
	v_add_f32_e32 v34, v12, v105
	v_add_f32_e32 v60, v39, v0
	v_add_f32_e32 v65, v14, v106
	v_add_f32_e32 v14, v38, v14
	v_add_f32_e32 v5, v5, v112
	v_add_f32_e32 v112, v107, v66
	v_fmac_f32_e32 v17, -0.5, v8
	v_fmac_f32_e32 v16, -0.5, v25
	v_add_f32_e32 v25, v97, v93
	v_sub_f32_e32 v32, v105, v121
	v_sub_f32_e32 v105, v0, v110
	s_waitcnt lgkmcnt(0)
	v_add_f32_e32 v0, v28, v13
	v_add_f32_e32 v111, v29, v6
	;; [unrolled: 1-line block ×5, first 2 shown]
	v_fmac_f32_e32 v24, -0.5, v11
	v_add_f32_e32 v11, v103, v122
	v_fmac_f32_e32 v12, -0.5, v27
	v_add_f32_e32 v27, v100, v87
	v_add_f32_e32 v9, v9, v57
	;; [unrolled: 1-line block ×3, first 2 shown]
	v_sub_f32_e32 v35, v108, v92
	v_add_f32_e32 v108, v13, v101
	v_add_f32_e32 v2, v2, v109
	v_sub_f32_e32 v109, v6, v104
	v_add_f32_e32 v6, v6, v104
	v_sub_f32_e32 v103, v103, v122
	v_fmac_f32_e32 v39, -0.5, v33
	v_add_f32_e32 v123, v61, v97
	v_add_f32_e32 v14, v14, v106
	v_add_f32_e32 v33, v60, v110
	v_add_f32_e32 v34, v34, v121
	v_add_f32_e32 v26, v26, v92
	v_fma_f32 v36, -0.5, v3, v36
	v_fma_f32 v37, -0.5, v1, v37
	v_fmac_f32_e32 v18, -0.5, v112
	v_fmac_f32_e32 v61, -0.5, v25
	v_fmamk_f32 v25, v19, 0x3f5db3d7, v17
	v_sub_f32_e32 v13, v13, v101
	v_add_f32_e32 v60, v62, v100
	v_sub_f32_e32 v97, v97, v93
	v_sub_f32_e32 v100, v100, v87
	v_fma_f32 v38, -0.5, v65, v38
	v_add_f32_e32 v65, v0, v101
	v_add_f32_e32 v101, v111, v104
	v_add_f32_e32 v95, v95, v122
	v_fmac_f32_e32 v15, -0.5, v11
	v_add_f32_e32 v11, v8, v66
	v_fmac_f32_e32 v62, -0.5, v27
	v_fmac_f32_e32 v17, 0xbf5db3d7, v19
	v_fmamk_f32 v19, v32, 0x3f5db3d7, v16
	v_add_f32_e32 v115, v31, v63
	v_sub_f32_e32 v106, v64, v98
	v_fmac_f32_e32 v31, -0.5, v57
	v_fmac_f32_e32 v16, 0xbf5db3d7, v32
	v_sub_f32_e32 v107, v107, v66
	v_fma_f32 v57, -0.5, v108, v28
	v_fma_f32 v66, -0.5, v6, v29
	v_fmamk_f32 v27, v22, 0xbf5db3d7, v24
	v_add_f32_e32 v1, v5, v9
	v_fmamk_f32 v28, v7, 0xbf5db3d7, v36
	v_fmamk_f32 v29, v4, 0x3f5db3d7, v37
	v_sub_f32_e32 v3, v5, v9
	v_fmac_f32_e32 v36, 0x3f5db3d7, v7
	v_fmac_f32_e32 v37, 0xbf5db3d7, v4
	v_add_f32_e32 v4, v14, v34
	v_add_f32_e32 v5, v33, v26
	v_sub_f32_e32 v6, v14, v34
	v_sub_f32_e32 v7, v33, v26
	v_fmamk_f32 v14, v103, 0x3f5db3d7, v18
	v_fmac_f32_e32 v18, 0xbf5db3d7, v103
	v_mul_f32_e32 v26, 0xbf5db3d7, v25
	v_mul_f32_e32 v25, 0.5, v25
	v_add_f32_e32 v0, v2, v10
	v_sub_f32_e32 v2, v2, v10
	v_fmac_f32_e32 v24, 0x3f5db3d7, v22
	v_add_f32_e32 v8, v65, v95
	v_add_f32_e32 v9, v101, v11
	v_sub_f32_e32 v10, v65, v95
	v_sub_f32_e32 v11, v101, v11
	v_fmamk_f32 v95, v97, 0x3f5db3d7, v62
	v_fmac_f32_e32 v62, 0xbf5db3d7, v97
	v_fmamk_f32 v97, v100, 0xbf5db3d7, v61
	v_fmac_f32_e32 v61, 0x3f5db3d7, v100
	v_mul_f32_e32 v100, 0xbf5db3d7, v17
	v_mul_f32_e32 v101, -0.5, v17
	v_fmamk_f32 v22, v35, 0xbf5db3d7, v12
	v_fmamk_f32 v33, v105, 0xbf5db3d7, v38
	v_fmac_f32_e32 v38, 0x3f5db3d7, v105
	v_mul_f32_e32 v104, 0xbf5db3d7, v19
	v_mul_f32_e32 v105, 0.5, v19
	v_fmac_f32_e32 v12, 0x3f5db3d7, v35
	v_fmamk_f32 v65, v106, 0x3f5db3d7, v31
	v_fmac_f32_e32 v31, 0xbf5db3d7, v106
	v_mul_f32_e32 v103, -0.5, v16
	v_mul_f32_e32 v106, 0xbf5db3d7, v16
	v_fmamk_f32 v32, v23, 0x3f5db3d7, v39
	v_fmac_f32_e32 v39, 0xbf5db3d7, v23
	v_fmamk_f32 v23, v107, 0xbf5db3d7, v15
	v_fmamk_f32 v34, v109, 0xbf5db3d7, v57
	v_fmac_f32_e32 v57, 0x3f5db3d7, v109
	v_fmac_f32_e32 v15, 0x3f5db3d7, v107
	v_mul_f32_e32 v107, 0xbf5db3d7, v14
	v_mul_f32_e32 v108, 0.5, v14
	v_mul_f32_e32 v109, 0xbf5db3d7, v18
	v_mul_f32_e32 v110, -0.5, v18
	v_fmac_f32_e32 v26, 0.5, v27
	v_fmac_f32_e32 v25, 0x3f5db3d7, v27
	v_fmac_f32_e32 v100, -0.5, v24
	v_fmac_f32_e32 v101, 0x3f5db3d7, v24
	v_fmac_f32_e32 v104, 0.5, v22
	v_fmac_f32_e32 v105, 0x3f5db3d7, v22
	v_fmac_f32_e32 v103, 0x3f5db3d7, v12
	v_fmac_f32_e32 v106, -0.5, v12
	v_fmamk_f32 v35, v13, 0x3f5db3d7, v66
	v_fmac_f32_e32 v66, 0xbf5db3d7, v13
	v_fmac_f32_e32 v107, 0.5, v23
	v_fmac_f32_e32 v108, 0x3f5db3d7, v23
	v_fmac_f32_e32 v109, -0.5, v15
	v_fmac_f32_e32 v110, 0x3f5db3d7, v15
	v_add_f32_e32 v12, v28, v26
	v_add_f32_e32 v13, v29, v25
	;; [unrolled: 1-line block ×4, first 2 shown]
	v_sub_f32_e32 v16, v28, v26
	v_sub_f32_e32 v17, v29, v25
	;; [unrolled: 1-line block ×4, first 2 shown]
	v_add_f32_e32 v26, v33, v104
	v_add_f32_e32 v27, v32, v105
	;; [unrolled: 1-line block ×4, first 2 shown]
	s_barrier
	buffer_gl0_inv
	v_sub_f32_e32 v25, v39, v103
	v_sub_f32_e32 v24, v38, v106
	;; [unrolled: 1-line block ×4, first 2 shown]
	v_add_f32_e32 v32, v34, v107
	v_add_f32_e32 v33, v35, v108
	v_sub_f32_e32 v34, v34, v107
	v_sub_f32_e32 v35, v35, v108
	v_add_f32_e32 v36, v57, v109
	v_add_f32_e32 v37, v66, v110
	v_sub_f32_e32 v38, v57, v109
	v_sub_f32_e32 v39, v66, v110
	ds_write2_b64 v91, v[0:1], v[12:13] offset1:60
	ds_write2_b64 v91, v[14:15], v[2:3] offset0:120 offset1:180
	ds_write2_b64 v118, v[16:17], v[18:19] offset0:112 offset1:172
	ds_write2_b64 v117, v[4:5], v[26:27] offset1:60
	ds_write2_b64 v117, v[22:23], v[6:7] offset0:120 offset1:180
	ds_write2_b64 v120, v[28:29], v[24:25] offset0:112 offset1:172
	;; [unrolled: 3-line block ×3, first 2 shown]
	v_add_f32_e32 v0, v99, v88
	v_add_f32_e32 v5, v90, v94
	;; [unrolled: 1-line block ×5, first 2 shown]
	v_fmac_f32_e32 v59, -0.5, v0
	v_sub_f32_e32 v0, v90, v94
	v_add_f32_e32 v16, v114, v90
	v_fmac_f32_e32 v114, -0.5, v5
	v_sub_f32_e32 v5, v99, v88
	v_fma_f32 v4, -0.5, v92, v30
	v_fmamk_f32 v19, v0, 0x3f5db3d7, v59
	v_fmac_f32_e32 v59, 0xbf5db3d7, v0
	v_add_f32_e32 v6, v21, v58
	v_fmac_f32_e32 v21, -0.5, v3
	v_sub_f32_e32 v0, v113, v89
	v_fmamk_f32 v22, v5, 0xbf5db3d7, v114
	v_fmac_f32_e32 v114, 0x3f5db3d7, v5
	v_mul_f32_e32 v8, -0.5, v59
	v_sub_f32_e32 v5, v63, v102
	v_mul_f32_e32 v9, 0xbf5db3d7, v62
	v_add_f32_e32 v2, v30, v64
	v_fmamk_f32 v24, v0, 0x3f5db3d7, v21
	v_fmac_f32_e32 v21, 0xbf5db3d7, v0
	v_fmac_f32_e32 v8, 0x3f5db3d7, v114
	v_add_f32_e32 v0, v113, v89
	v_fmamk_f32 v15, v5, 0xbf5db3d7, v4
	v_fmac_f32_e32 v4, 0x3f5db3d7, v5
	v_fmac_f32_e32 v9, -0.5, v61
	v_add_f32_e32 v17, v20, v113
	v_fma_f32 v18, -0.5, v0, v20
	v_add_f32_e32 v5, v21, v8
	v_sub_f32_e32 v8, v21, v8
	v_add_f32_e32 v0, v4, v9
	v_add_f32_e32 v11, v2, v98
	v_mul_f32_e32 v20, 0xbf5db3d7, v95
	v_sub_f32_e32 v2, v4, v9
	v_mul_f32_e32 v4, 0.5, v95
	v_sub_f32_e32 v21, v58, v96
	v_mul_f32_e32 v23, 0xbf5db3d7, v59
	v_add_f32_e32 v12, v115, v102
	v_add_f32_e32 v13, v123, v93
	;; [unrolled: 1-line block ×3, first 2 shown]
	v_fmac_f32_e32 v20, 0.5, v97
	v_fmac_f32_e32 v4, 0x3f5db3d7, v97
	v_fmamk_f32 v25, v21, 0xbf5db3d7, v18
	v_fmac_f32_e32 v18, 0x3f5db3d7, v21
	v_fmac_f32_e32 v23, -0.5, v114
	v_mul_f32_e32 v111, -0.5, v62
	v_add_f32_e32 v9, v11, v13
	v_add_f32_e32 v10, v12, v14
	v_sub_f32_e32 v11, v11, v13
	v_sub_f32_e32 v12, v12, v14
	v_add_f32_e32 v13, v15, v20
	v_add_f32_e32 v14, v65, v4
	v_sub_f32_e32 v15, v15, v20
	v_add_f32_e32 v20, v17, v89
	v_add_f32_e32 v6, v6, v96
	;; [unrolled: 1-line block ×4, first 2 shown]
	v_sub_f32_e32 v16, v65, v4
	v_add_f32_e32 v4, v18, v23
	v_sub_f32_e32 v7, v18, v23
	v_mul_f32_e32 v23, 0xbf5db3d7, v19
	v_mul_u32_u24_e32 v28, 0xb40, v68
	v_lshlrev_b32_sdwa v29, v84, v86 dst_sel:DWORD dst_unused:UNUSED_PAD src0_sel:DWORD src1_sel:WORD_0
	v_mul_f32_e32 v27, 0.5, v19
	v_fmac_f32_e32 v111, 0x3f5db3d7, v61
	v_add_f32_e32 v17, v20, v21
	v_add_f32_e32 v18, v6, v26
	v_sub_f32_e32 v19, v20, v21
	v_sub_f32_e32 v20, v6, v26
	v_fmac_f32_e32 v23, 0.5, v22
	v_add3_u32 v6, 0, v28, v29
	v_fmac_f32_e32 v27, 0x3f5db3d7, v22
	v_mul_u32_u24_e32 v26, 0xb40, v67
	v_lshlrev_b32_sdwa v28, v84, v85 dst_sel:DWORD dst_unused:UNUSED_PAD src0_sel:DWORD src1_sel:WORD_0
	v_add_co_u32 v32, s0, s8, v54
	v_add_f32_e32 v1, v31, v111
	v_sub_f32_e32 v3, v31, v111
	v_add_f32_e32 v21, v25, v23
	v_sub_f32_e32 v23, v25, v23
	v_add_nc_u32_e32 v25, 0x400, v6
	v_add_co_ci_u32_e64 v33, s0, s9, v55, s0
	v_add_f32_e32 v22, v24, v27
	v_add3_u32 v26, 0, v26, v28
	ds_write2_b64 v6, v[9:10], v[13:14] offset1:60
	ds_write2_b64 v6, v[0:1], v[11:12] offset0:120 offset1:180
	ds_write2_b64 v25, v[15:16], v[2:3] offset0:112 offset1:172
	ds_write2_b64 v26, v[17:18], v[21:22] offset1:60
	ds_write2_b64 v26, v[4:5], v[19:20] offset0:120 offset1:180
	v_add_co_u32 v9, s0, 0x800, v32
	v_add_co_ci_u32_e64 v10, s0, 0, v33, s0
	v_add_nc_u32_e32 v1, 0xffffffb8, v40
	v_add_nc_u32_e32 v6, 0x2a0, v40
	v_mov_b32_e32 v14, 0x2d83
	v_cmp_gt_u32_e64 s0, 0x48, v40
	v_mov_b32_e32 v3, v41
	v_sub_f32_e32 v24, v24, v27
	v_add_nc_u32_e32 v0, 0x400, v26
	v_add_nc_u32_e32 v12, 0x3c0, v40
	v_cndmask_b32_e64 v2, v1, v83, s0
	v_mul_u32_u24_sdwa v1, v6, v14 dst_sel:DWORD dst_unused:UNUSED_PAD src0_sel:WORD_0 src1_sel:DWORD
	v_add_nc_u32_e32 v13, 0x420, v40
	ds_write2_b64 v0, v[23:24], v[7:8] offset0:112 offset1:172
	v_add_co_u32 v0, s0, 0x1000, v32
	v_lshlrev_b64 v[4:5], 3, v[2:3]
	v_lshrrev_b32_e32 v3, 22, v1
	v_add_co_ci_u32_e64 v1, s0, 0, v33, s0
	s_waitcnt lgkmcnt(0)
	s_barrier
	v_mul_lo_u16 v7, 0x168, v3
	v_add_co_u32 v4, s0, s8, v4
	v_add_co_ci_u32_e64 v5, s0, s9, v5, s0
	v_sub_nc_u16 v11, v6, v7
	v_add_co_u32 v7, s0, 0x800, v4
	v_add_co_ci_u32_e64 v8, s0, 0, v5, s0
	v_lshlrev_b32_sdwa v4, v84, v11 dst_sel:DWORD dst_unused:UNUSED_PAD src0_sel:DWORD src1_sel:WORD_0
	v_mul_u32_u24_sdwa v5, v52, v14 dst_sel:DWORD dst_unused:UNUSED_PAD src0_sel:WORD_0 src1_sel:DWORD
	buffer_gl0_inv
	s_clause 0x3
	global_load_dwordx2 v[30:31], v[0:1], off offset:240
	global_load_dwordx2 v[66:67], v[9:10], off offset:1712
	;; [unrolled: 1-line block ×4, first 2 shown]
	v_add_nc_u32_e32 v11, 0x360, v40
	v_add_co_u32 v9, s0, s8, v4
	v_add_co_ci_u32_e64 v10, null, s9, 0, s0
	v_lshrrev_b32_e32 v5, 22, v5
	v_mul_u32_u24_sdwa v15, v11, v14 dst_sel:DWORD dst_unused:UNUSED_PAD src0_sel:WORD_0 src1_sel:DWORD
	v_add_co_u32 v9, s0, 0x800, v9
	v_add_co_ci_u32_e64 v10, s0, 0, v10, s0
	v_mul_lo_u16 v18, 0x168, v5
	v_lshrrev_b32_e32 v15, 22, v15
	v_mul_u32_u24_sdwa v16, v12, v14 dst_sel:DWORD dst_unused:UNUSED_PAD src0_sel:WORD_0 src1_sel:DWORD
	global_load_dwordx2 v[99:100], v[9:10], off offset:752
	v_mul_u32_u24_sdwa v17, v13, v14 dst_sel:DWORD dst_unused:UNUSED_PAD src0_sel:WORD_0 src1_sel:DWORD
	v_sub_nc_u16 v9, v52, v18
	v_mul_lo_u16 v10, 0x168, v15
	v_lshrrev_b32_e32 v16, 22, v16
	s_clause 0x1
	global_load_dwordx2 v[101:102], v[7:8], off offset:752
	global_load_dwordx2 v[103:104], v[0:1], off offset:432
	v_lshrrev_b32_e32 v5, 22, v17
	v_lshlrev_b32_sdwa v9, v84, v9 dst_sel:DWORD dst_unused:UNUSED_PAD src0_sel:DWORD src1_sel:WORD_0
	v_sub_nc_u16 v7, v11, v10
	v_mul_lo_u16 v15, 0x168, v16
	v_add_nc_u32_e32 v18, 0x4e0, v40
	v_mul_lo_u16 v16, 0x168, v5
	v_add_co_u32 v10, s0, s8, v9
	v_add_co_ci_u32_e64 v11, null, s9, 0, s0
	v_lshlrev_b32_sdwa v8, v84, v7 dst_sel:DWORD dst_unused:UNUSED_PAD src0_sel:DWORD src1_sel:WORD_0
	v_add_co_u32 v10, s0, 0x800, v10
	v_add_co_ci_u32_e64 v11, s0, 0, v11, s0
	v_sub_nc_u16 v12, v12, v15
	v_sub_nc_u16 v15, v13, v16
	v_add_co_u32 v13, s0, s8, v8
	v_add_co_ci_u32_e64 v16, null, s9, 0, s0
	v_lshlrev_b32_sdwa v7, v84, v12 dst_sel:DWORD dst_unused:UNUSED_PAD src0_sel:DWORD src1_sel:WORD_0
	v_add_co_u32 v12, s0, 0x800, v13
	v_add_co_ci_u32_e64 v13, s0, 0, v16, s0
	v_mul_u32_u24_sdwa v16, v56, v14 dst_sel:DWORD dst_unused:UNUSED_PAD src0_sel:WORD_0 src1_sel:DWORD
	v_add_nc_u32_e32 v19, 0x540, v40
	v_add_co_u32 v17, s0, s8, v7
	v_mul_u32_u24_sdwa v21, v18, v14 dst_sel:DWORD dst_unused:UNUSED_PAD src0_sel:WORD_0 src1_sel:DWORD
	v_lshrrev_b32_e32 v16, 22, v16
	v_add_co_ci_u32_e64 v20, null, s9, 0, s0
	v_mul_u32_u24_sdwa v22, v19, v14 dst_sel:DWORD dst_unused:UNUSED_PAD src0_sel:WORD_0 src1_sel:DWORD
	v_add_co_u32 v14, s0, 0x800, v17
	v_lshrrev_b32_e32 v17, 22, v21
	v_mul_lo_u16 v16, 0x168, v16
	v_lshlrev_b32_sdwa v52, v84, v15 dst_sel:DWORD dst_unused:UNUSED_PAD src0_sel:DWORD src1_sel:WORD_0
	v_add_co_ci_u32_e64 v15, s0, 0, v20, s0
	v_mul_lo_u16 v23, 0x168, v17
	v_sub_nc_u16 v24, v56, v16
	v_add_co_u32 v21, s0, s8, v52
	v_lshrrev_b32_e32 v20, 22, v22
	v_add_co_ci_u32_e64 v22, null, s9, 0, s0
	v_sub_nc_u16 v18, v18, v23
	v_lshlrev_b32_sdwa v68, v84, v24 dst_sel:DWORD dst_unused:UNUSED_PAD src0_sel:DWORD src1_sel:WORD_0
	v_add_co_u32 v16, s0, 0x800, v21
	v_add_co_ci_u32_e64 v17, s0, 0, v22, s0
	v_lshlrev_b32_sdwa v119, v84, v18 dst_sel:DWORD dst_unused:UNUSED_PAD src0_sel:DWORD src1_sel:WORD_0
	v_mul_lo_u16 v20, 0x168, v20
	s_clause 0x3
	global_load_dwordx2 v[105:106], v[10:11], off offset:752
	global_load_dwordx2 v[107:108], v[12:13], off offset:752
	;; [unrolled: 1-line block ×4, first 2 shown]
	v_add_co_u32 v10, s0, s8, v68
	v_add_co_ci_u32_e64 v11, null, s9, 0, s0
	v_add_co_u32 v12, s0, s8, v119
	v_sub_nc_u16 v19, v19, v20
	v_add_co_ci_u32_e64 v13, null, s9, 0, s0
	v_add_co_u32 v10, s0, 0x800, v10
	v_add_co_ci_u32_e64 v11, s0, 0, v11, s0
	v_add_co_u32 v12, s0, 0x800, v12
	v_lshlrev_b32_sdwa v120, v84, v19 dst_sel:DWORD dst_unused:UNUSED_PAD src0_sel:DWORD src1_sel:WORD_0
	v_add_co_ci_u32_e64 v13, s0, 0, v13, s0
	v_add_co_u32 v34, s0, s8, v50
	v_add_co_ci_u32_e64 v35, s0, s9, v51, s0
	v_add_co_u32 v16, s0, s8, v120
	v_add_co_ci_u32_e64 v17, null, s9, 0, s0
	v_add_co_u32 v14, s0, 0x800, v34
	v_add_co_ci_u32_e64 v15, s0, 0, v35, s0
	s_clause 0x1
	global_load_dwordx2 v[50:51], v[10:11], off offset:752
	global_load_dwordx2 v[113:114], v[12:13], off offset:752
	v_add_co_u32 v10, s0, 0x800, v16
	v_add_co_ci_u32_e64 v11, s0, 0, v17, s0
	s_clause 0x1
	global_load_dwordx2 v[115:116], v[14:15], off offset:752
	global_load_dwordx2 v[117:118], v[10:11], off offset:752
	ds_read2_b64 v[10:13], v70 offset1:96
	ds_read2_b64 v[14:17], v76 offset0:64 offset1:160
	ds_read2_b64 v[18:21], v82 offset0:128 offset1:224
	ds_read2_b64 v[22:25], v71 offset0:64 offset1:160
	ds_read2_b64 v[26:29], v75 offset1:96
	ds_read2_b64 v[36:39], v81 offset0:64 offset1:160
	ds_read2_b64 v[54:57], v72 offset0:128 offset1:224
	ds_read2_b64 v[58:61], v78 offset0:64 offset1:160
	;; [unrolled: 4-line block ×3, first 2 shown]
	v_cmp_lt_u32_e64 s0, 0x47, v40
	v_lshlrev_b32_e32 v2, 3, v2
	v_add_nc_u32_e32 v9, 0, v9
	v_mul_u32_u24_e32 v5, 0x1680, v5
	v_add_nc_u32_e32 v7, 0, v7
	v_add3_u32 v5, 0, v5, v52
	s_waitcnt vmcnt(12) lgkmcnt(11)
	v_mul_f32_e32 v121, v96, v11
	v_mul_f32_e32 v96, v96, v10
	;; [unrolled: 1-line block ×4, first 2 shown]
	v_fmac_f32_e32 v121, v95, v10
	v_fma_f32 v10, v95, v11, -v96
	v_fmac_f32_e32 v122, v12, v30
	v_fma_f32 v12, v13, v30, -v31
	s_waitcnt vmcnt(11) lgkmcnt(10)
	v_mul_f32_e32 v96, v17, v98
	v_mul_f32_e32 v13, v16, v98
	s_waitcnt lgkmcnt(9)
	v_mul_f32_e32 v98, v19, v67
	v_mul_f32_e32 v30, v18, v67
	v_fmac_f32_e32 v96, v16, v97
	v_fma_f32 v97, v17, v97, -v13
	v_fmac_f32_e32 v98, v18, v66
	v_fma_f32 v66, v19, v66, -v30
	s_waitcnt vmcnt(9)
	v_mul_f32_e32 v95, v15, v102
	v_mul_f32_e32 v11, v14, v102
	s_waitcnt lgkmcnt(8)
	v_mul_f32_e32 v102, v23, v100
	s_waitcnt vmcnt(8)
	v_mul_f32_e32 v67, v21, v104
	v_mul_f32_e32 v31, v20, v104
	v_fmac_f32_e32 v95, v14, v101
	v_fma_f32 v101, v15, v101, -v11
	v_mul_f32_e32 v11, v22, v100
	v_fmac_f32_e32 v67, v20, v103
	v_fmac_f32_e32 v102, v22, v99
	v_fma_f32 v103, v21, v103, -v31
	v_fma_f32 v99, v23, v99, -v11
	s_waitcnt vmcnt(7)
	v_mul_f32_e32 v100, v25, v106
	v_mul_f32_e32 v13, v24, v106
	s_waitcnt vmcnt(6) lgkmcnt(7)
	v_mul_f32_e32 v104, v27, v108
	v_mul_f32_e32 v14, v26, v108
	s_waitcnt vmcnt(5)
	v_mul_f32_e32 v106, v29, v110
	v_mul_f32_e32 v15, v28, v110
	v_fmac_f32_e32 v100, v24, v105
	v_fma_f32 v105, v25, v105, -v13
	s_waitcnt vmcnt(4) lgkmcnt(6)
	v_mul_f32_e32 v108, v37, v112
	v_mul_f32_e32 v16, v36, v112
	v_fmac_f32_e32 v104, v26, v107
	v_fma_f32 v107, v27, v107, -v14
	s_waitcnt lgkmcnt(3)
	v_sub_f32_e32 v24, v64, v121
	v_sub_f32_e32 v25, v65, v10
	s_waitcnt lgkmcnt(2)
	v_sub_f32_e32 v26, v83, v122
	v_sub_f32_e32 v27, v84, v12
	v_fmac_f32_e32 v106, v28, v109
	v_fma_f32 v109, v29, v109, -v15
	v_fmac_f32_e32 v108, v36, v111
	v_fma_f32 v111, v37, v111, -v16
	v_sub_f32_e32 v36, v85, v95
	v_sub_f32_e32 v37, v86, v101
	v_fma_f32 v30, v64, 2.0, -v24
	v_fma_f32 v31, v65, 2.0, -v25
	s_waitcnt vmcnt(3)
	v_mul_f32_e32 v110, v39, v51
	v_mul_f32_e32 v17, v38, v51
	s_waitcnt vmcnt(2)
	v_mul_f32_e32 v112, v55, v114
	v_mul_f32_e32 v20, v54, v114
	s_waitcnt lgkmcnt(1)
	v_sub_f32_e32 v51, v90, v66
	v_fmac_f32_e32 v110, v38, v50
	v_add_nc_u32_e32 v38, 0xc00, v69
	s_waitcnt vmcnt(1)
	v_mul_f32_e32 v18, v116, v61
	v_mul_f32_e32 v19, v116, v60
	s_waitcnt vmcnt(0)
	v_mul_f32_e32 v11, v56, v118
	v_mul_f32_e32 v114, v57, v118
	v_fma_f32 v116, v39, v50, -v17
	v_fmac_f32_e32 v18, v115, v60
	v_fma_f32 v13, v115, v61, -v19
	v_fmac_f32_e32 v112, v54, v113
	v_fma_f32 v113, v55, v113, -v20
	v_fma_f32 v115, v57, v117, -v11
	v_sub_f32_e32 v22, v62, v18
	v_sub_f32_e32 v23, v63, v13
	ds_read2_b64 v[10:13], v79 offset1:96
	ds_read2_b64 v[14:17], v53 offset0:64 offset1:160
	ds_read2_b64 v[18:21], v73 offset0:128 offset1:224
	v_fmac_f32_e32 v114, v56, v117
	v_cndmask_b32_e64 v56, 0, 0x1680, s0
	v_fma_f32 v28, v62, 2.0, -v22
	v_fma_f32 v29, v63, 2.0, -v23
	s_waitcnt lgkmcnt(0)
	s_barrier
	buffer_gl0_inv
	ds_write2_b64 v38, v[24:25], v[26:27] offset0:72 offset1:168
	v_sub_f32_e32 v38, v87, v96
	v_sub_f32_e32 v39, v88, v97
	;; [unrolled: 1-line block ×3, first 2 shown]
	v_fma_f32 v24, v83, 2.0, -v26
	v_fma_f32 v25, v84, 2.0, -v27
	;; [unrolled: 1-line block ×4, first 2 shown]
	v_add3_u32 v2, 0, v56, v2
	v_fma_f32 v54, v87, 2.0, -v38
	v_fma_f32 v55, v88, 2.0, -v39
	;; [unrolled: 1-line block ×4, first 2 shown]
	ds_write2_b64 v69, v[28:29], v[30:31] offset1:96
	ds_write2_b64 v80, v[24:25], v[22:23] offset0:64 offset1:232
	ds_write_b64 v2, v[26:27]
	v_add_nc_u32_e32 v25, 0x1400, v69
	ds_write_b64 v2, v[36:37] offset:2880
	v_sub_f32_e32 v22, v91, v67
	v_sub_f32_e32 v23, v92, v103
	;; [unrolled: 1-line block ×3, first 2 shown]
	ds_write2_b64 v25, v[54:55], v[56:57] offset0:104 offset1:200
	v_sub_f32_e32 v25, v94, v99
	v_mul_u32_u24_e32 v37, 0x1680, v3
	v_sub_f32_e32 v30, v10, v100
	v_sub_f32_e32 v31, v11, v105
	v_fma_f32 v26, v91, 2.0, -v22
	v_fma_f32 v27, v92, 2.0, -v23
	;; [unrolled: 1-line block ×3, first 2 shown]
	v_sub_f32_e32 v54, v12, v104
	v_fma_f32 v29, v94, 2.0, -v25
	v_sub_f32_e32 v55, v13, v107
	v_add3_u32 v4, 0, v37, v4
	v_sub_f32_e32 v56, v14, v106
	v_sub_f32_e32 v57, v15, v109
	v_add_nc_u32_e32 v36, 0x2400, v69
	v_fma_f32 v10, v10, 2.0, -v30
	v_fma_f32 v11, v11, 2.0, -v31
	v_sub_f32_e32 v60, v16, v108
	v_sub_f32_e32 v61, v17, v111
	v_fma_f32 v12, v12, 2.0, -v54
	v_fma_f32 v13, v13, 2.0, -v55
	v_sub_f32_e32 v62, v18, v110
	v_sub_f32_e32 v63, v19, v116
	ds_write2_b64 v53, v[26:27], v[38:39] offset0:40 offset1:208
	ds_write2_b64 v36, v[50:51], v[22:23] offset0:48 offset1:144
	ds_write_b64 v4, v[28:29]
	ds_write_b64 v4, v[24:25] offset:2880
	v_add_nc_u32_e32 v4, 0, v8
	v_fma_f32 v14, v14, 2.0, -v56
	v_fma_f32 v15, v15, 2.0, -v57
	v_sub_f32_e32 v64, v20, v112
	v_sub_f32_e32 v65, v21, v113
	v_add_co_u32 v8, s0, 0x1800, v32
	v_fma_f32 v16, v16, 2.0, -v60
	v_fma_f32 v17, v17, 2.0, -v61
	v_sub_f32_e32 v66, v58, v114
	v_sub_f32_e32 v67, v59, v115
	ds_write_b64 v9, v[10:11] offset:11520
	ds_write_b64 v9, v[30:31] offset:14400
	;; [unrolled: 1-line block ×3, first 2 shown]
	v_add_co_ci_u32_e64 v9, s0, 0, v33, s0
	v_fma_f32 v18, v18, 2.0, -v62
	v_fma_f32 v19, v19, 2.0, -v63
	ds_write_b64 v4, v[54:55] offset:14400
	ds_write_b64 v7, v[14:15] offset:11520
	ds_write_b64 v7, v[56:57] offset:14400
	v_add_nc_u32_e32 v4, 0, v68
	v_add_co_u32 v37, s0, s8, v48
	v_fma_f32 v2, v20, 2.0, -v64
	v_fma_f32 v3, v21, 2.0, -v65
	v_add_nc_u32_e32 v7, 0, v119
	v_add_co_ci_u32_e64 v38, s0, s9, v49, s0
	v_fma_f32 v20, v58, 2.0, -v66
	v_fma_f32 v21, v59, 2.0, -v67
	ds_write_b64 v5, v[16:17]
	ds_write_b64 v5, v[60:61] offset:2880
	v_add_nc_u32_e32 v5, 0, v120
	ds_write_b64 v4, v[18:19] offset:17280
	ds_write_b64 v4, v[62:63] offset:20160
	;; [unrolled: 1-line block ×5, first 2 shown]
	v_add_co_u32 v2, s0, 0x1000, v37
	v_add_co_ci_u32_e64 v3, s0, 0, v38, s0
	v_subrev_nc_u32_e32 v7, 48, v40
	v_cmp_gt_u32_e64 s0, 48, v40
	v_mov_b32_e32 v49, v41
	ds_write_b64 v5, v[66:67] offset:20160
	s_waitcnt lgkmcnt(0)
	s_barrier
	v_cndmask_b32_e64 v48, v7, v6, s0
	v_add_co_u32 v18, s0, 0x2000, v32
	v_add_co_ci_u32_e64 v19, s0, 0, v33, s0
	buffer_gl0_inv
	s_clause 0x2
	global_load_dwordx2 v[4:5], v[8:9], off offset:304
	global_load_dwordx2 v[26:27], v[8:9], off offset:1072
	;; [unrolled: 1-line block ×3, first 2 shown]
	v_lshlrev_b64 v[6:7], 3, v[48:49]
	s_clause 0x1
	global_load_dwordx2 v[24:25], v[2:3], off offset:1584
	global_load_dwordx2 v[16:17], v[18:19], off offset:1328
	v_add_co_u32 v2, s0, 0x2800, v32
	v_add_co_ci_u32_e64 v3, s0, 0, v33, s0
	v_add_co_u32 v6, s0, s8, v6
	v_add_co_ci_u32_e64 v7, s0, s9, v7, s0
	global_load_dwordx2 v[20:21], v[2:3], off offset:48
	v_add_co_u32 v6, s0, 0x1000, v6
	v_add_co_ci_u32_e64 v7, s0, 0, v7, s0
	v_add_co_u32 v30, s0, 0x1000, v34
	v_add_co_ci_u32_e64 v31, s0, 0, v35, s0
	s_clause 0x8
	global_load_dwordx2 v[10:11], v[6:7], off offset:1584
	global_load_dwordx2 v[12:13], v[0:1], off offset:1968
	;; [unrolled: 1-line block ×9, first 2 shown]
	v_cmp_lt_u32_e64 s0, 47, v40
	v_lshlrev_b32_e32 v48, 3, v48
	v_add_nc_u32_e32 v39, 0x2c00, v69
	v_cndmask_b32_e64 v49, 0, 0x2d00, s0
	v_add_co_u32 v66, s0, 0x3000, v32
	v_add_co_ci_u32_e64 v67, s0, 0, v33, s0
	v_add_co_u32 v115, s0, 0x3800, v32
	v_add3_u32 v48, 0, v49, v48
	ds_read2_b64 v[49:52], v70 offset1:96
	v_add_co_ci_u32_e64 v116, s0, 0, v33, s0
	v_add_co_u32 v68, s0, s8, v44
	v_add_co_ci_u32_e64 v121, s0, s9, v45, s0
	v_add_co_u32 v117, s0, 0x4000, v32
	;; [unrolled: 2-line block ×4, first 2 shown]
	v_add_co_ci_u32_e64 v123, s0, s9, v47, s0
	ds_read2_b64 v[44:47], v76 offset0:64 offset1:160
	ds_read2_b64 v[54:57], v82 offset0:128 offset1:224
	ds_read2_b64 v[58:61], v71 offset0:64 offset1:160
	ds_read2_b64 v[62:65], v75 offset1:96
	ds_read2_b64 v[83:86], v81 offset0:64 offset1:160
	ds_read2_b64 v[87:90], v72 offset0:128 offset1:224
	ds_read2_b64 v[91:94], v78 offset0:64 offset1:160
	ds_read2_b64 v[95:98], v69 offset1:96
	;; [unrolled: 4-line block ×3, first 2 shown]
	v_add_co_u32 v37, s0, 0x2800, v37
	v_add_co_ci_u32_e64 v38, s0, 0, v38, s0
	s_waitcnt vmcnt(14) lgkmcnt(12)
	v_mul_f32_e32 v124, v5, v50
	v_mul_f32_e32 v5, v5, v49
	s_waitcnt vmcnt(13)
	v_mul_f32_e32 v125, v27, v52
	v_mul_f32_e32 v27, v27, v51
	v_fmac_f32_e32 v124, v4, v49
	v_fma_f32 v5, v4, v50, -v5
	s_waitcnt vmcnt(12) lgkmcnt(11)
	v_mul_f32_e32 v4, v44, v23
	s_waitcnt vmcnt(10) lgkmcnt(10)
	v_mul_f32_e32 v50, v55, v17
	v_mul_f32_e32 v17, v54, v17
	v_fmac_f32_e32 v125, v26, v51
	v_fma_f32 v26, v26, v52, -v27
	v_mul_f32_e32 v27, v45, v23
	v_mul_f32_e32 v49, v47, v25
	;; [unrolled: 1-line block ×3, first 2 shown]
	v_fma_f32 v51, v45, v22, -v4
	v_fmac_f32_e32 v50, v54, v16
	v_fma_f32 v16, v55, v16, -v17
	s_waitcnt vmcnt(9)
	v_mul_f32_e32 v17, v57, v21
	v_mul_f32_e32 v4, v56, v21
	v_fmac_f32_e32 v27, v44, v22
	v_fmac_f32_e32 v49, v46, v24
	v_fma_f32 v52, v47, v24, -v23
	ds_read2_b64 v[22:25], v53 offset0:64 offset1:160
	ds_read2_b64 v[44:47], v73 offset0:128 offset1:224
	v_fmac_f32_e32 v17, v56, v20
	v_fma_f32 v20, v57, v20, -v4
	s_waitcnt vmcnt(8) lgkmcnt(11)
	v_mul_f32_e32 v4, v58, v11
	s_waitcnt vmcnt(6) lgkmcnt(10)
	v_mul_f32_e32 v55, v63, v7
	v_mul_f32_e32 v7, v62, v7
	s_waitcnt vmcnt(5)
	v_mul_f32_e32 v57, v65, v1
	v_mul_f32_e32 v1, v64, v1
	;; [unrolled: 1-line block ×5, first 2 shown]
	v_fma_f32 v56, v59, v10, -v4
	s_waitcnt vmcnt(4) lgkmcnt(9)
	v_mul_f32_e32 v4, v83, v15
	v_fmac_f32_e32 v55, v62, v6
	v_fma_f32 v62, v63, v6, -v7
	s_waitcnt vmcnt(0) lgkmcnt(7)
	v_mul_f32_e32 v6, v31, v94
	v_fmac_f32_e32 v57, v64, v0
	v_fma_f32 v64, v65, v0, -v1
	v_mul_f32_e32 v0, v31, v93
	v_fmac_f32_e32 v21, v58, v10
	v_fmac_f32_e32 v54, v60, v12
	v_fma_f32 v58, v61, v12, -v11
	v_mul_f32_e32 v59, v84, v15
	v_mul_f32_e32 v60, v86, v19
	;; [unrolled: 1-line block ×7, first 2 shown]
	v_fma_f32 v29, v84, v14, -v4
	v_fmac_f32_e32 v6, v30, v93
	v_fma_f32 v4, v30, v94, -v0
	v_fmac_f32_e32 v59, v83, v14
	v_fmac_f32_e32 v60, v85, v18
	v_fma_f32 v31, v86, v18, -v10
	v_fmac_f32_e32 v61, v87, v8
	v_fma_f32 v65, v88, v8, -v9
	;; [unrolled: 2-line block ×3, first 2 shown]
	s_waitcnt lgkmcnt(6)
	v_sub_f32_e32 v0, v95, v6
	v_sub_f32_e32 v1, v96, v4
	v_sub_f32_e32 v4, v97, v124
	v_sub_f32_e32 v5, v98, v5
	s_waitcnt lgkmcnt(5)
	v_sub_f32_e32 v6, v99, v125
	v_sub_f32_e32 v7, v100, v26
	v_sub_f32_e32 v8, v101, v27
	v_sub_f32_e32 v9, v102, v51
	;; [unrolled: 5-line block ×7, first 2 shown]
	v_sub_f32_e32 v51, v91, v63
	v_sub_f32_e32 v52, v92, v83
	v_fma_f32 v54, v95, 2.0, -v0
	v_fma_f32 v55, v96, 2.0, -v1
	;; [unrolled: 1-line block ×12, first 2 shown]
	s_barrier
	buffer_gl0_inv
	ds_write2_b64 v36, v[12:13], v[14:15] offset0:48 offset1:144
	v_fma_f32 v12, v107, 2.0, -v14
	v_fma_f32 v13, v108, 2.0, -v15
	;; [unrolled: 1-line block ×18, first 2 shown]
	ds_write2_b64 v79, v[4:5], v[6:7] offset0:48 offset1:144
	ds_write2_b64 v53, v[8:9], v[10:11] offset0:112 offset1:208
	ds_write2_b64 v69, v[54:55], v[56:57] offset1:96
	ds_write2_b64 v80, v[58:59], v[60:61] offset0:64 offset1:160
	ds_write2_b64 v77, v[62:63], v[64:65] offset0:128 offset1:224
	;; [unrolled: 1-line block ×3, first 2 shown]
	ds_write_b64 v48, v[14:15]
	ds_write_b64 v48, v[16:17] offset:5760
	ds_write2_b64 v39, v[83:84], v[85:86] offset0:80 offset1:176
	ds_write2_b64 v75, v[20:21], v[26:27] offset1:96
	ds_write2_b64 v70, v[22:23], v[24:25] offset0:144 offset1:240
	ds_write2_b64 v81, v[28:29], v[30:31] offset0:64 offset1:160
	;; [unrolled: 1-line block ×5, first 2 shown]
	v_add_co_u32 v0, s0, 0x2800, v68
	v_add_co_ci_u32_e64 v1, s0, 0, v121, s0
	s_waitcnt lgkmcnt(0)
	s_barrier
	buffer_gl0_inv
	s_clause 0xa
	global_load_dwordx2 v[83:84], v[2:3], off offset:1968
	global_load_dwordx2 v[85:86], v[66:67], off offset:688
	;; [unrolled: 1-line block ×11, first 2 shown]
	v_add_co_u32 v0, s0, 0x2800, v122
	v_add_co_ci_u32_e64 v1, s0, 0, v123, s0
	v_add_co_u32 v2, s0, 0x5000, v32
	v_add_co_ci_u32_e64 v3, s0, 0, v33, s0
	s_clause 0x1
	global_load_dwordx2 v[103:104], v[0:1], off offset:1200
	global_load_dwordx2 v[105:106], v[2:3], off offset:944
	v_add_co_u32 v0, s0, 0x2800, v34
	v_add_co_ci_u32_e64 v1, s0, 0, v35, s0
	s_clause 0x1
	global_load_dwordx2 v[107:108], v[2:3], off offset:1712
	global_load_dwordx2 v[109:110], v[0:1], off offset:1200
	ds_read2_b64 v[0:3], v70 offset1:96
	ds_read2_b64 v[4:7], v76 offset0:64 offset1:160
	ds_read2_b64 v[8:11], v82 offset0:128 offset1:224
	ds_read2_b64 v[12:15], v71 offset0:64 offset1:160
	ds_read2_b64 v[16:19], v75 offset1:96
	ds_read2_b64 v[20:23], v81 offset0:64 offset1:160
	ds_read2_b64 v[24:27], v72 offset0:128 offset1:224
	ds_read2_b64 v[28:31], v78 offset0:64 offset1:160
	;; [unrolled: 4-line block ×3, first 2 shown]
	ds_read2_b64 v[54:57], v79 offset1:96
	ds_read2_b64 v[58:61], v53 offset0:64 offset1:160
	ds_read2_b64 v[62:65], v73 offset0:128 offset1:224
	s_waitcnt vmcnt(0) lgkmcnt(0)
	s_barrier
	buffer_gl0_inv
	v_mul_f32_e32 v113, v9, v90
	v_mul_f32_e32 v90, v8, v90
	;; [unrolled: 1-line block ×12, first 2 shown]
	v_fma_f32 v68, v83, v1, -v68
	v_mul_f32_e32 v1, v18, v96
	v_fmac_f32_e32 v112, v6, v87
	v_fma_f32 v87, v7, v87, -v88
	v_mul_f32_e32 v114, v11, v92
	v_mul_f32_e32 v92, v10, v92
	;; [unrolled: 1-line block ×5, first 2 shown]
	v_fmac_f32_e32 v52, v83, v0
	v_mul_f32_e32 v0, v16, v102
	v_mul_f32_e32 v83, v19, v96
	;; [unrolled: 1-line block ×4, first 2 shown]
	v_fmac_f32_e32 v84, v85, v2
	v_fma_f32 v85, v85, v3, -v86
	v_mul_f32_e32 v86, v21, v98
	v_mul_f32_e32 v2, v20, v98
	;; [unrolled: 1-line block ×5, first 2 shown]
	v_fmac_f32_e32 v111, v4, v66
	v_fma_f32 v66, v5, v66, -v67
	v_mul_f32_e32 v4, v24, v106
	v_mul_f32_e32 v67, v27, v108
	;; [unrolled: 1-line block ×3, first 2 shown]
	v_fma_f32 v88, v9, v89, -v90
	v_fmac_f32_e32 v115, v12, v93
	v_fma_f32 v90, v13, v93, -v94
	v_fma_f32 v93, v19, v95, -v1
	v_fmac_f32_e32 v6, v109, v30
	v_fma_f32 v1, v109, v31, -v7
	v_fmac_f32_e32 v113, v8, v89
	v_fmac_f32_e32 v114, v10, v91
	v_fma_f32 v89, v11, v91, -v92
	v_fmac_f32_e32 v116, v14, v99
	v_fma_f32 v91, v15, v99, -v100
	;; [unrolled: 2-line block ×3, first 2 shown]
	v_fmac_f32_e32 v83, v18, v95
	v_fmac_f32_e32 v86, v20, v97
	v_fma_f32 v94, v21, v97, -v2
	v_fmac_f32_e32 v96, v22, v103
	v_fma_f32 v95, v23, v103, -v3
	;; [unrolled: 2-line block ×4, first 2 shown]
	v_sub_f32_e32 v0, v32, v6
	v_sub_f32_e32 v1, v33, v1
	v_sub_f32_e32 v2, v34, v52
	v_sub_f32_e32 v3, v35, v68
	v_sub_f32_e32 v4, v36, v84
	v_sub_f32_e32 v5, v37, v85
	v_sub_f32_e32 v6, v38, v111
	v_sub_f32_e32 v7, v39, v66
	v_sub_f32_e32 v8, v44, v112
	v_sub_f32_e32 v9, v45, v87
	v_sub_f32_e32 v10, v46, v113
	v_sub_f32_e32 v11, v47, v88
	v_sub_f32_e32 v12, v48, v114
	v_sub_f32_e32 v13, v49, v89
	v_sub_f32_e32 v14, v50, v115
	v_sub_f32_e32 v15, v51, v90
	v_sub_f32_e32 v16, v54, v116
	v_sub_f32_e32 v17, v55, v91
	v_sub_f32_e32 v18, v56, v117
	v_sub_f32_e32 v19, v57, v92
	v_sub_f32_e32 v20, v58, v83
	v_sub_f32_e32 v21, v59, v93
	v_sub_f32_e32 v22, v60, v86
	v_sub_f32_e32 v23, v61, v94
	v_sub_f32_e32 v24, v62, v96
	v_sub_f32_e32 v25, v63, v95
	v_sub_f32_e32 v26, v64, v98
	v_sub_f32_e32 v27, v65, v30
	v_sub_f32_e32 v30, v28, v67
	v_sub_f32_e32 v31, v29, v31
	v_fma_f32 v32, v32, 2.0, -v0
	v_fma_f32 v33, v33, 2.0, -v1
	;; [unrolled: 1-line block ×4, first 2 shown]
	ds_write2_b64 v70, v[2:3], v[4:5] offset1:96
	v_fma_f32 v2, v36, 2.0, -v4
	v_fma_f32 v3, v37, 2.0, -v5
	v_fma_f32 v4, v38, 2.0, -v6
	v_fma_f32 v5, v39, 2.0, -v7
	ds_write2_b64 v76, v[6:7], v[8:9] offset0:64 offset1:160
	v_fma_f32 v6, v44, 2.0, -v8
	v_fma_f32 v7, v45, 2.0, -v9
	v_fma_f32 v8, v46, 2.0, -v10
	v_fma_f32 v9, v47, 2.0, -v11
	ds_write2_b64 v82, v[10:11], v[12:13] offset0:128 offset1:224
	v_fma_f32 v10, v48, 2.0, -v12
	v_fma_f32 v11, v49, 2.0, -v13
	v_fma_f32 v12, v50, 2.0, -v14
	v_fma_f32 v13, v51, 2.0, -v15
	ds_write2_b64 v71, v[14:15], v[16:17] offset0:64 offset1:160
	v_fma_f32 v14, v54, 2.0, -v16
	v_fma_f32 v15, v55, 2.0, -v17
	;; [unrolled: 1-line block ×14, first 2 shown]
	ds_write2_b64 v75, v[18:19], v[20:21] offset1:96
	ds_write2_b64 v81, v[22:23], v[24:25] offset0:64 offset1:160
	ds_write2_b64 v72, v[26:27], v[30:31] offset0:128 offset1:224
	ds_write2_b64 v69, v[32:33], v[34:35] offset1:96
	ds_write2_b64 v80, v[2:3], v[4:5] offset0:64 offset1:160
	ds_write2_b64 v77, v[6:7], v[8:9] offset0:128 offset1:224
	;; [unrolled: 1-line block ×3, first 2 shown]
	ds_write2_b64 v79, v[14:15], v[16:17] offset1:96
	ds_write2_b64 v53, v[36:37], v[38:39] offset0:64 offset1:160
	ds_write2_b64 v73, v[44:45], v[46:47] offset0:128 offset1:224
	;; [unrolled: 1-line block ×3, first 2 shown]
	s_waitcnt lgkmcnt(0)
	s_barrier
	buffer_gl0_inv
	s_and_saveexec_b32 s0, vcc_lo
	s_cbranch_execz .LBB0_19
; %bb.18:
	v_lshl_add_u32 v20, v40, 3, 0
	v_lshlrev_b64 v[4:5], 3, v[40:41]
	v_add_co_u32 v21, vcc_lo, s2, v42
	v_add_nc_u32_e32 v6, 0x60, v40
	ds_read2_b64 v[0:3], v20 offset1:96
	v_mov_b32_e32 v7, v41
	v_add_co_ci_u32_e32 v22, vcc_lo, s3, v43, vcc_lo
	v_add_co_u32 v14, vcc_lo, v21, v4
	v_lshlrev_b64 v[12:13], 3, v[6:7]
	v_add_nc_u32_e32 v6, 0x400, v20
	v_add_nc_u32_e32 v8, 0xc0, v40
	v_mov_b32_e32 v9, v41
	v_add_nc_u32_e32 v10, 0x120, v40
	v_mov_b32_e32 v11, v41
	v_add_nc_u32_e32 v17, 0x800, v20
	v_add_co_ci_u32_e32 v15, vcc_lo, v22, v5, vcc_lo
	ds_read2_b64 v[4:7], v6 offset0:64 offset1:160
	v_add_nc_u32_e32 v16, 0x180, v40
	v_add_co_u32 v12, vcc_lo, v21, v12
	v_add_co_ci_u32_e32 v13, vcc_lo, v22, v13, vcc_lo
	s_waitcnt lgkmcnt(1)
	global_store_dwordx2 v[14:15], v[0:1], off
	v_lshlrev_b64 v[0:1], 3, v[8:9]
	v_lshlrev_b64 v[14:15], 3, v[10:11]
	ds_read2_b64 v[8:11], v17 offset0:128 offset1:224
	v_mov_b32_e32 v17, v41
	v_add_nc_u32_e32 v18, 0x1e0, v40
	v_mov_b32_e32 v19, v41
	v_add_co_u32 v0, vcc_lo, v21, v0
	v_lshlrev_b64 v[16:17], 3, v[16:17]
	v_add_co_ci_u32_e32 v1, vcc_lo, v22, v1, vcc_lo
	v_add_co_u32 v14, vcc_lo, v21, v14
	v_add_co_ci_u32_e32 v15, vcc_lo, v22, v15, vcc_lo
	v_add_co_u32 v16, vcc_lo, v21, v16
	v_add_co_ci_u32_e32 v17, vcc_lo, v22, v17, vcc_lo
	global_store_dwordx2 v[12:13], v[2:3], off
	s_waitcnt lgkmcnt(1)
	global_store_dwordx2 v[0:1], v[4:5], off
	global_store_dwordx2 v[14:15], v[6:7], off
	s_waitcnt lgkmcnt(0)
	global_store_dwordx2 v[16:17], v[8:9], off
	v_lshlrev_b64 v[0:1], 3, v[18:19]
	v_add_nc_u32_e32 v2, 0x1000, v20
	v_add_nc_u32_e32 v4, 0x240, v40
	v_mov_b32_e32 v5, v41
	v_add_nc_u32_e32 v6, 0x2a0, v40
	v_mov_b32_e32 v7, v41
	v_add_nc_u32_e32 v17, 0x1800, v20
	v_add_co_u32 v8, vcc_lo, v21, v0
	v_add_co_ci_u32_e32 v9, vcc_lo, v22, v1, vcc_lo
	ds_read2_b64 v[0:3], v2 offset0:64 offset1:160
	v_lshlrev_b64 v[12:13], 3, v[4:5]
	v_lshlrev_b64 v[14:15], 3, v[6:7]
	ds_read2_b64 v[4:7], v17 offset1:96
	v_add_nc_u32_e32 v16, 0x300, v40
	v_mov_b32_e32 v17, v41
	v_add_nc_u32_e32 v18, 0x360, v40
	v_add_co_u32 v12, vcc_lo, v21, v12
	v_add_co_ci_u32_e32 v13, vcc_lo, v22, v13, vcc_lo
	v_lshlrev_b64 v[16:17], 3, v[16:17]
	v_add_co_u32 v14, vcc_lo, v21, v14
	v_add_co_ci_u32_e32 v15, vcc_lo, v22, v15, vcc_lo
	v_add_co_u32 v16, vcc_lo, v21, v16
	v_add_co_ci_u32_e32 v17, vcc_lo, v22, v17, vcc_lo
	global_store_dwordx2 v[8:9], v[10:11], off
	s_waitcnt lgkmcnt(1)
	global_store_dwordx2 v[12:13], v[0:1], off
	global_store_dwordx2 v[14:15], v[2:3], off
	s_waitcnt lgkmcnt(0)
	global_store_dwordx2 v[16:17], v[4:5], off
	v_lshlrev_b64 v[0:1], 3, v[18:19]
	v_add_nc_u32_e32 v2, 0x1c00, v20
	v_add_nc_u32_e32 v8, 0x420, v40
	v_mov_b32_e32 v9, v41
	v_add_nc_u32_e32 v10, 0x2000, v20
	v_add_nc_u32_e32 v4, 0x3c0, v40
	v_mov_b32_e32 v5, v41
	v_add_co_u32 v12, vcc_lo, v21, v0
	v_add_co_ci_u32_e32 v13, vcc_lo, v22, v1, vcc_lo
	ds_read2_b64 v[0:3], v2 offset0:64 offset1:160
	v_lshlrev_b64 v[14:15], 3, v[8:9]
	ds_read2_b64 v[8:11], v10 offset0:128 offset1:224
	v_lshlrev_b64 v[4:5], 3, v[4:5]
	v_add_nc_u32_e32 v16, 0x480, v40
	v_mov_b32_e32 v17, v41
	v_add_nc_u32_e32 v18, 0x4e0, v40
	v_add_co_u32 v4, vcc_lo, v21, v4
	v_lshlrev_b64 v[16:17], 3, v[16:17]
	v_add_co_ci_u32_e32 v5, vcc_lo, v22, v5, vcc_lo
	v_add_co_u32 v14, vcc_lo, v21, v14
	v_add_co_ci_u32_e32 v15, vcc_lo, v22, v15, vcc_lo
	v_add_co_u32 v16, vcc_lo, v21, v16
	v_add_co_ci_u32_e32 v17, vcc_lo, v22, v17, vcc_lo
	global_store_dwordx2 v[12:13], v[6:7], off
	s_waitcnt lgkmcnt(1)
	global_store_dwordx2 v[4:5], v[0:1], off
	global_store_dwordx2 v[14:15], v[2:3], off
	s_waitcnt lgkmcnt(0)
	global_store_dwordx2 v[16:17], v[8:9], off
	v_lshlrev_b64 v[0:1], 3, v[18:19]
	v_add_nc_u32_e32 v2, 0x2800, v20
	v_add_nc_u32_e32 v4, 0x540, v40
	v_mov_b32_e32 v5, v41
	v_add_nc_u32_e32 v6, 0x5a0, v40
	v_mov_b32_e32 v7, v41
	v_add_nc_u32_e32 v17, 0x3000, v20
	v_add_co_u32 v8, vcc_lo, v21, v0
	v_add_co_ci_u32_e32 v9, vcc_lo, v22, v1, vcc_lo
	ds_read2_b64 v[0:3], v2 offset0:64 offset1:160
	v_lshlrev_b64 v[12:13], 3, v[4:5]
	v_lshlrev_b64 v[14:15], 3, v[6:7]
	ds_read2_b64 v[4:7], v17 offset1:96
	v_add_nc_u32_e32 v16, 0x600, v40
	v_mov_b32_e32 v17, v41
	v_add_nc_u32_e32 v18, 0x660, v40
	v_add_co_u32 v12, vcc_lo, v21, v12
	v_add_co_ci_u32_e32 v13, vcc_lo, v22, v13, vcc_lo
	v_lshlrev_b64 v[16:17], 3, v[16:17]
	v_add_co_u32 v14, vcc_lo, v21, v14
	v_add_co_ci_u32_e32 v15, vcc_lo, v22, v15, vcc_lo
	v_add_co_u32 v16, vcc_lo, v21, v16
	v_add_co_ci_u32_e32 v17, vcc_lo, v22, v17, vcc_lo
	global_store_dwordx2 v[8:9], v[10:11], off
	s_waitcnt lgkmcnt(1)
	global_store_dwordx2 v[12:13], v[0:1], off
	global_store_dwordx2 v[14:15], v[2:3], off
	s_waitcnt lgkmcnt(0)
	global_store_dwordx2 v[16:17], v[4:5], off
	v_lshlrev_b64 v[0:1], 3, v[18:19]
	v_add_nc_u32_e32 v2, 0x3400, v20
	v_add_nc_u32_e32 v8, 0x720, v40
	v_mov_b32_e32 v9, v41
	v_add_nc_u32_e32 v10, 0x3800, v20
	v_add_nc_u32_e32 v4, 0x6c0, v40
	v_mov_b32_e32 v5, v41
	v_add_co_u32 v12, vcc_lo, v21, v0
	v_add_co_ci_u32_e32 v13, vcc_lo, v22, v1, vcc_lo
	ds_read2_b64 v[0:3], v2 offset0:64 offset1:160
	v_lshlrev_b64 v[14:15], 3, v[8:9]
	ds_read2_b64 v[8:11], v10 offset0:128 offset1:224
	v_lshlrev_b64 v[4:5], 3, v[4:5]
	v_add_nc_u32_e32 v16, 0x780, v40
	v_mov_b32_e32 v17, v41
	v_add_nc_u32_e32 v18, 0x7e0, v40
	v_add_co_u32 v4, vcc_lo, v21, v4
	v_lshlrev_b64 v[16:17], 3, v[16:17]
	v_add_co_ci_u32_e32 v5, vcc_lo, v22, v5, vcc_lo
	v_add_co_u32 v14, vcc_lo, v21, v14
	v_add_co_ci_u32_e32 v15, vcc_lo, v22, v15, vcc_lo
	v_add_co_u32 v16, vcc_lo, v21, v16
	v_add_co_ci_u32_e32 v17, vcc_lo, v22, v17, vcc_lo
	global_store_dwordx2 v[12:13], v[6:7], off
	s_waitcnt lgkmcnt(1)
	global_store_dwordx2 v[4:5], v[0:1], off
	global_store_dwordx2 v[14:15], v[2:3], off
	s_waitcnt lgkmcnt(0)
	global_store_dwordx2 v[16:17], v[8:9], off
	v_lshlrev_b64 v[0:1], 3, v[18:19]
	v_add_nc_u32_e32 v2, 0x4000, v20
	v_add_nc_u32_e32 v4, 0x840, v40
	v_mov_b32_e32 v5, v41
	v_add_nc_u32_e32 v6, 0x8a0, v40
	v_mov_b32_e32 v7, v41
	v_add_nc_u32_e32 v17, 0x4800, v20
	v_add_co_u32 v8, vcc_lo, v21, v0
	v_add_co_ci_u32_e32 v9, vcc_lo, v22, v1, vcc_lo
	ds_read2_b64 v[0:3], v2 offset0:64 offset1:160
	v_lshlrev_b64 v[12:13], 3, v[4:5]
	v_lshlrev_b64 v[14:15], 3, v[6:7]
	ds_read2_b64 v[4:7], v17 offset1:96
	v_add_nc_u32_e32 v16, 0x900, v40
	v_mov_b32_e32 v17, v41
	v_add_nc_u32_e32 v18, 0x960, v40
	v_add_co_u32 v12, vcc_lo, v21, v12
	v_add_co_ci_u32_e32 v13, vcc_lo, v22, v13, vcc_lo
	v_lshlrev_b64 v[16:17], 3, v[16:17]
	v_add_co_u32 v14, vcc_lo, v21, v14
	v_add_co_ci_u32_e32 v15, vcc_lo, v22, v15, vcc_lo
	v_add_co_u32 v16, vcc_lo, v21, v16
	v_add_co_ci_u32_e32 v17, vcc_lo, v22, v17, vcc_lo
	global_store_dwordx2 v[8:9], v[10:11], off
	s_waitcnt lgkmcnt(1)
	global_store_dwordx2 v[12:13], v[0:1], off
	global_store_dwordx2 v[14:15], v[2:3], off
	s_waitcnt lgkmcnt(0)
	global_store_dwordx2 v[16:17], v[4:5], off
	v_lshlrev_b64 v[0:1], 3, v[18:19]
	v_add_nc_u32_e32 v2, 0x4c00, v20
	v_add_nc_u32_e32 v4, 0x9c0, v40
	v_mov_b32_e32 v5, v41
	v_add_nc_u32_e32 v8, 0xa20, v40
	v_mov_b32_e32 v9, v41
	v_add_nc_u32_e32 v10, 0x5000, v20
	v_add_co_u32 v12, vcc_lo, v21, v0
	v_add_co_ci_u32_e32 v13, vcc_lo, v22, v1, vcc_lo
	ds_read2_b64 v[0:3], v2 offset0:64 offset1:160
	v_lshlrev_b64 v[4:5], 3, v[4:5]
	v_lshlrev_b64 v[14:15], 3, v[8:9]
	v_add_nc_u32_e32 v16, 0xa80, v40
	v_mov_b32_e32 v17, v41
	ds_read2_b64 v[8:11], v10 offset0:128 offset1:224
	v_add_nc_u32_e32 v40, 0xae0, v40
	v_add_co_u32 v4, vcc_lo, v21, v4
	v_lshlrev_b64 v[16:17], 3, v[16:17]
	v_add_co_ci_u32_e32 v5, vcc_lo, v22, v5, vcc_lo
	v_add_co_u32 v14, vcc_lo, v21, v14
	v_lshlrev_b64 v[18:19], 3, v[40:41]
	v_add_co_ci_u32_e32 v15, vcc_lo, v22, v15, vcc_lo
	v_add_co_u32 v16, vcc_lo, v21, v16
	v_add_co_ci_u32_e32 v17, vcc_lo, v22, v17, vcc_lo
	v_add_co_u32 v18, vcc_lo, v21, v18
	v_add_co_ci_u32_e32 v19, vcc_lo, v22, v19, vcc_lo
	global_store_dwordx2 v[12:13], v[6:7], off
	s_waitcnt lgkmcnt(1)
	global_store_dwordx2 v[4:5], v[0:1], off
	global_store_dwordx2 v[14:15], v[2:3], off
	s_waitcnt lgkmcnt(0)
	global_store_dwordx2 v[16:17], v[8:9], off
	global_store_dwordx2 v[18:19], v[10:11], off
.LBB0_19:
	s_endpgm
	.section	.rodata,"a",@progbits
	.p2align	6, 0x0
	.amdhsa_kernel fft_rtc_back_len2880_factors_10_6_6_2_2_2_wgs_96_tpt_96_halfLds_sp_ip_CI_unitstride_sbrr_C2R_dirReg
		.amdhsa_group_segment_fixed_size 0
		.amdhsa_private_segment_fixed_size 0
		.amdhsa_kernarg_size 88
		.amdhsa_user_sgpr_count 6
		.amdhsa_user_sgpr_private_segment_buffer 1
		.amdhsa_user_sgpr_dispatch_ptr 0
		.amdhsa_user_sgpr_queue_ptr 0
		.amdhsa_user_sgpr_kernarg_segment_ptr 1
		.amdhsa_user_sgpr_dispatch_id 0
		.amdhsa_user_sgpr_flat_scratch_init 0
		.amdhsa_user_sgpr_private_segment_size 0
		.amdhsa_wavefront_size32 1
		.amdhsa_uses_dynamic_stack 0
		.amdhsa_system_sgpr_private_segment_wavefront_offset 0
		.amdhsa_system_sgpr_workgroup_id_x 1
		.amdhsa_system_sgpr_workgroup_id_y 0
		.amdhsa_system_sgpr_workgroup_id_z 0
		.amdhsa_system_sgpr_workgroup_info 0
		.amdhsa_system_vgpr_workitem_id 0
		.amdhsa_next_free_vgpr 167
		.amdhsa_next_free_sgpr 21
		.amdhsa_reserve_vcc 1
		.amdhsa_reserve_flat_scratch 0
		.amdhsa_float_round_mode_32 0
		.amdhsa_float_round_mode_16_64 0
		.amdhsa_float_denorm_mode_32 3
		.amdhsa_float_denorm_mode_16_64 3
		.amdhsa_dx10_clamp 1
		.amdhsa_ieee_mode 1
		.amdhsa_fp16_overflow 0
		.amdhsa_workgroup_processor_mode 1
		.amdhsa_memory_ordered 1
		.amdhsa_forward_progress 0
		.amdhsa_shared_vgpr_count 0
		.amdhsa_exception_fp_ieee_invalid_op 0
		.amdhsa_exception_fp_denorm_src 0
		.amdhsa_exception_fp_ieee_div_zero 0
		.amdhsa_exception_fp_ieee_overflow 0
		.amdhsa_exception_fp_ieee_underflow 0
		.amdhsa_exception_fp_ieee_inexact 0
		.amdhsa_exception_int_div_zero 0
	.end_amdhsa_kernel
	.text
.Lfunc_end0:
	.size	fft_rtc_back_len2880_factors_10_6_6_2_2_2_wgs_96_tpt_96_halfLds_sp_ip_CI_unitstride_sbrr_C2R_dirReg, .Lfunc_end0-fft_rtc_back_len2880_factors_10_6_6_2_2_2_wgs_96_tpt_96_halfLds_sp_ip_CI_unitstride_sbrr_C2R_dirReg
                                        ; -- End function
	.section	.AMDGPU.csdata,"",@progbits
; Kernel info:
; codeLenInByte = 19112
; NumSgprs: 23
; NumVgprs: 167
; ScratchSize: 0
; MemoryBound: 0
; FloatMode: 240
; IeeeMode: 1
; LDSByteSize: 0 bytes/workgroup (compile time only)
; SGPRBlocks: 2
; VGPRBlocks: 20
; NumSGPRsForWavesPerEU: 23
; NumVGPRsForWavesPerEU: 167
; Occupancy: 5
; WaveLimiterHint : 1
; COMPUTE_PGM_RSRC2:SCRATCH_EN: 0
; COMPUTE_PGM_RSRC2:USER_SGPR: 6
; COMPUTE_PGM_RSRC2:TRAP_HANDLER: 0
; COMPUTE_PGM_RSRC2:TGID_X_EN: 1
; COMPUTE_PGM_RSRC2:TGID_Y_EN: 0
; COMPUTE_PGM_RSRC2:TGID_Z_EN: 0
; COMPUTE_PGM_RSRC2:TIDIG_COMP_CNT: 0
	.text
	.p2alignl 6, 3214868480
	.fill 48, 4, 3214868480
	.type	__hip_cuid_1447ed95532feab2,@object ; @__hip_cuid_1447ed95532feab2
	.section	.bss,"aw",@nobits
	.globl	__hip_cuid_1447ed95532feab2
__hip_cuid_1447ed95532feab2:
	.byte	0                               ; 0x0
	.size	__hip_cuid_1447ed95532feab2, 1

	.ident	"AMD clang version 19.0.0git (https://github.com/RadeonOpenCompute/llvm-project roc-6.4.0 25133 c7fe45cf4b819c5991fe208aaa96edf142730f1d)"
	.section	".note.GNU-stack","",@progbits
	.addrsig
	.addrsig_sym __hip_cuid_1447ed95532feab2
	.amdgpu_metadata
---
amdhsa.kernels:
  - .args:
      - .actual_access:  read_only
        .address_space:  global
        .offset:         0
        .size:           8
        .value_kind:     global_buffer
      - .offset:         8
        .size:           8
        .value_kind:     by_value
      - .actual_access:  read_only
        .address_space:  global
        .offset:         16
        .size:           8
        .value_kind:     global_buffer
      - .actual_access:  read_only
        .address_space:  global
        .offset:         24
        .size:           8
        .value_kind:     global_buffer
      - .offset:         32
        .size:           8
        .value_kind:     by_value
      - .actual_access:  read_only
        .address_space:  global
        .offset:         40
        .size:           8
        .value_kind:     global_buffer
      - .actual_access:  read_only
        .address_space:  global
        .offset:         48
        .size:           8
        .value_kind:     global_buffer
      - .offset:         56
        .size:           4
        .value_kind:     by_value
      - .actual_access:  read_only
        .address_space:  global
        .offset:         64
        .size:           8
        .value_kind:     global_buffer
      - .actual_access:  read_only
        .address_space:  global
        .offset:         72
        .size:           8
        .value_kind:     global_buffer
      - .address_space:  global
        .offset:         80
        .size:           8
        .value_kind:     global_buffer
    .group_segment_fixed_size: 0
    .kernarg_segment_align: 8
    .kernarg_segment_size: 88
    .language:       OpenCL C
    .language_version:
      - 2
      - 0
    .max_flat_workgroup_size: 96
    .name:           fft_rtc_back_len2880_factors_10_6_6_2_2_2_wgs_96_tpt_96_halfLds_sp_ip_CI_unitstride_sbrr_C2R_dirReg
    .private_segment_fixed_size: 0
    .sgpr_count:     23
    .sgpr_spill_count: 0
    .symbol:         fft_rtc_back_len2880_factors_10_6_6_2_2_2_wgs_96_tpt_96_halfLds_sp_ip_CI_unitstride_sbrr_C2R_dirReg.kd
    .uniform_work_group_size: 1
    .uses_dynamic_stack: false
    .vgpr_count:     167
    .vgpr_spill_count: 0
    .wavefront_size: 32
    .workgroup_processor_mode: 1
amdhsa.target:   amdgcn-amd-amdhsa--gfx1030
amdhsa.version:
  - 1
  - 2
...

	.end_amdgpu_metadata
